;; amdgpu-corpus repo=ROCm/rocFFT kind=compiled arch=gfx1201 opt=O3
	.text
	.amdgcn_target "amdgcn-amd-amdhsa--gfx1201"
	.amdhsa_code_object_version 6
	.protected	fft_rtc_fwd_len240_factors_4_5_3_4_wgs_240_tpt_20_dim3_sp_ip_CI_sbcc_twdbase8_2step_dirReg ; -- Begin function fft_rtc_fwd_len240_factors_4_5_3_4_wgs_240_tpt_20_dim3_sp_ip_CI_sbcc_twdbase8_2step_dirReg
	.globl	fft_rtc_fwd_len240_factors_4_5_3_4_wgs_240_tpt_20_dim3_sp_ip_CI_sbcc_twdbase8_2step_dirReg
	.p2align	8
	.type	fft_rtc_fwd_len240_factors_4_5_3_4_wgs_240_tpt_20_dim3_sp_ip_CI_sbcc_twdbase8_2step_dirReg,@function
fft_rtc_fwd_len240_factors_4_5_3_4_wgs_240_tpt_20_dim3_sp_ip_CI_sbcc_twdbase8_2step_dirReg: ; @fft_rtc_fwd_len240_factors_4_5_3_4_wgs_240_tpt_20_dim3_sp_ip_CI_sbcc_twdbase8_2step_dirReg
; %bb.0:
	s_load_b128 s[8:11], s[0:1], 0x10
	s_mov_b32 s3, 0
	s_mov_b32 s4, 0x55540000
	s_movk_i32 s5, 0x55
	s_mov_b32 s2, s3
	s_delay_alu instid0(SALU_CYCLE_1) | instskip(NEXT) | instid1(SALU_CYCLE_1)
	s_add_nc_u64 s[4:5], s[2:3], s[4:5]
	s_add_co_i32 s5, s5, 0x15555500
	s_delay_alu instid0(SALU_CYCLE_1) | instskip(NEXT) | instid1(SALU_CYCLE_1)
	s_mul_u64 s[6:7], s[4:5], -12
	s_mul_hi_u32 s15, s4, s7
	s_mul_i32 s14, s4, s7
	s_mul_hi_u32 s2, s4, s6
	s_mul_i32 s17, s5, s6
	s_add_nc_u64 s[14:15], s[2:3], s[14:15]
	s_mul_hi_u32 s16, s5, s6
	s_mul_hi_u32 s18, s5, s7
	s_add_co_u32 s2, s14, s17
	s_wait_kmcnt 0x0
	s_load_b64 s[12:13], s[8:9], 0x8
	s_add_co_ci_u32 s2, s15, s16
	s_mul_i32 s6, s5, s7
	s_add_co_ci_u32 s7, s18, 0
	s_delay_alu instid0(SALU_CYCLE_1) | instskip(NEXT) | instid1(SALU_CYCLE_1)
	s_add_nc_u64 s[6:7], s[2:3], s[6:7]
	v_add_co_u32 v1, s2, s4, s6
	s_delay_alu instid0(VALU_DEP_1) | instskip(SKIP_1) | instid1(VALU_DEP_1)
	s_cmp_lg_u32 s2, 0
	s_add_co_ci_u32 s14, s5, s7
	v_readfirstlane_b32 s15, v1
	s_wait_kmcnt 0x0
	s_add_nc_u64 s[4:5], s[12:13], -1
	s_wait_alu 0xfffe
	s_mul_hi_u32 s7, s4, s14
	s_mul_i32 s6, s4, s14
	s_mul_hi_u32 s2, s4, s15
	s_mul_hi_u32 s17, s5, s15
	s_mul_i32 s15, s5, s15
	s_wait_alu 0xfffe
	s_add_nc_u64 s[6:7], s[2:3], s[6:7]
	s_mul_hi_u32 s16, s5, s14
	s_wait_alu 0xfffe
	s_add_co_u32 s2, s6, s15
	s_add_co_ci_u32 s2, s7, s17
	s_mul_i32 s14, s5, s14
	s_add_co_ci_u32 s15, s16, 0
	s_delay_alu instid0(SALU_CYCLE_1) | instskip(SKIP_2) | instid1(SALU_CYCLE_1)
	s_add_nc_u64 s[6:7], s[2:3], s[14:15]
	s_wait_alu 0xfffe
	s_mul_u64 s[14:15], s[6:7], 12
	v_sub_co_u32 v1, s2, s4, s14
	s_delay_alu instid0(VALU_DEP_1) | instskip(SKIP_1) | instid1(VALU_DEP_1)
	s_cmp_lg_u32 s2, 0
	s_sub_co_ci_u32 s16, s5, s15
	v_sub_co_u32 v2, s4, v1, 12
	s_delay_alu instid0(VALU_DEP_1) | instskip(SKIP_2) | instid1(VALU_DEP_2)
	s_cmp_lg_u32 s4, 0
	v_readfirstlane_b32 s17, v1
	s_sub_co_ci_u32 s14, s16, 0
	v_readfirstlane_b32 s2, v2
	s_add_nc_u64 s[4:5], s[6:7], 1
	s_delay_alu instid0(VALU_DEP_1)
	s_cmp_gt_u32 s2, 11
	s_cselect_b32 s2, -1, 0
	s_wait_alu 0xfffe
	s_cmp_eq_u32 s14, 0
	s_add_nc_u64 s[14:15], s[6:7], 2
	s_cselect_b32 s2, s2, -1
	s_delay_alu instid0(SALU_CYCLE_1)
	s_cmp_lg_u32 s2, 0
	s_wait_alu 0xfffe
	s_cselect_b32 s2, s14, s4
	s_cselect_b32 s4, s15, s5
	s_cmp_gt_u32 s17, 11
	s_cselect_b32 s5, -1, 0
	s_cmp_eq_u32 s16, 0
	s_mov_b64 s[16:17], 0
	s_wait_alu 0xfffe
	s_cselect_b32 s5, s5, -1
	s_wait_alu 0xfffe
	s_cmp_lg_u32 s5, 0
	s_cselect_b32 s5, s4, s7
	s_cselect_b32 s4, s2, s6
	s_mov_b32 s2, ttmp9
	s_wait_alu 0xfffe
	s_add_nc_u64 s[14:15], s[4:5], 1
	s_wait_alu 0xfffe
	v_cmp_lt_u64_e64 s4, s[2:3], s[14:15]
	s_delay_alu instid0(VALU_DEP_1)
	s_and_b32 vcc_lo, exec_lo, s4
	s_cbranch_vccnz .LBB0_2
; %bb.1:
	v_cvt_f32_u32_e32 v1, s14
	s_sub_co_i32 s5, 0, s14
	s_mov_b32 s17, s3
	s_delay_alu instid0(VALU_DEP_1) | instskip(NEXT) | instid1(TRANS32_DEP_1)
	v_rcp_iflag_f32_e32 v1, v1
	v_mul_f32_e32 v1, 0x4f7ffffe, v1
	s_delay_alu instid0(VALU_DEP_1) | instskip(NEXT) | instid1(VALU_DEP_1)
	v_cvt_u32_f32_e32 v1, v1
	v_readfirstlane_b32 s4, v1
	s_wait_alu 0xfffe
	s_delay_alu instid0(VALU_DEP_1)
	s_mul_i32 s5, s5, s4
	s_wait_alu 0xfffe
	s_mul_hi_u32 s5, s4, s5
	s_wait_alu 0xfffe
	s_add_co_i32 s4, s4, s5
	s_wait_alu 0xfffe
	s_mul_hi_u32 s4, s2, s4
	s_wait_alu 0xfffe
	s_mul_i32 s5, s4, s14
	s_add_co_i32 s6, s4, 1
	s_wait_alu 0xfffe
	s_sub_co_i32 s5, s2, s5
	s_wait_alu 0xfffe
	s_sub_co_i32 s7, s5, s14
	s_cmp_ge_u32 s5, s14
	s_cselect_b32 s4, s6, s4
	s_wait_alu 0xfffe
	s_cselect_b32 s5, s7, s5
	s_add_co_i32 s6, s4, 1
	s_wait_alu 0xfffe
	s_cmp_ge_u32 s5, s14
	s_cselect_b32 s16, s6, s4
.LBB0_2:
	s_load_b64 s[20:21], s[8:9], 0x10
	s_mov_b64 s[8:9], s[16:17]
	s_wait_kmcnt 0x0
	v_cmp_lt_u64_e64 s4, s[16:17], s[20:21]
	s_delay_alu instid0(VALU_DEP_1)
	s_and_b32 vcc_lo, exec_lo, s4
	s_cbranch_vccnz .LBB0_4
; %bb.3:
	v_cvt_f32_u32_e32 v1, s20
	s_sub_co_i32 s5, 0, s20
	s_mov_b32 s9, 0
	s_delay_alu instid0(VALU_DEP_1) | instskip(NEXT) | instid1(TRANS32_DEP_1)
	v_rcp_iflag_f32_e32 v1, v1
	v_mul_f32_e32 v1, 0x4f7ffffe, v1
	s_delay_alu instid0(VALU_DEP_1) | instskip(NEXT) | instid1(VALU_DEP_1)
	v_cvt_u32_f32_e32 v1, v1
	v_readfirstlane_b32 s4, v1
	s_wait_alu 0xfffe
	s_delay_alu instid0(VALU_DEP_1)
	s_mul_i32 s5, s5, s4
	s_wait_alu 0xfffe
	s_mul_hi_u32 s5, s4, s5
	s_wait_alu 0xfffe
	s_add_co_i32 s4, s4, s5
	s_wait_alu 0xfffe
	s_mul_hi_u32 s4, s16, s4
	s_wait_alu 0xfffe
	s_mul_i32 s4, s4, s20
	s_wait_alu 0xfffe
	s_sub_co_i32 s4, s16, s4
	s_wait_alu 0xfffe
	s_sub_co_i32 s5, s4, s20
	s_cmp_ge_u32 s4, s20
	s_wait_alu 0xfffe
	s_cselect_b32 s4, s5, s4
	s_wait_alu 0xfffe
	s_sub_co_i32 s5, s4, s20
	s_cmp_ge_u32 s4, s20
	s_wait_alu 0xfffe
	s_cselect_b32 s8, s5, s4
.LBB0_4:
	s_clause 0x1
	s_load_b128 s[4:7], s[10:11], 0x0
	s_load_b64 s[18:19], s[10:11], 0x10
	s_mul_u64 s[22:23], s[20:21], s[14:15]
	s_delay_alu instid0(SALU_CYCLE_1) | instskip(NEXT) | instid1(VALU_DEP_1)
	v_cmp_lt_u64_e64 s20, s[2:3], s[22:23]
	s_and_b32 vcc_lo, exec_lo, s20
	s_mov_b64 s[20:21], 0
	s_cbranch_vccnz .LBB0_6
; %bb.5:
	v_cvt_f32_u32_e32 v1, s22
	s_sub_co_i32 s21, 0, s22
	s_delay_alu instid0(VALU_DEP_1) | instskip(NEXT) | instid1(TRANS32_DEP_1)
	v_rcp_iflag_f32_e32 v1, v1
	v_mul_f32_e32 v1, 0x4f7ffffe, v1
	s_delay_alu instid0(VALU_DEP_1) | instskip(NEXT) | instid1(VALU_DEP_1)
	v_cvt_u32_f32_e32 v1, v1
	v_readfirstlane_b32 s20, v1
	s_wait_alu 0xfffe
	s_delay_alu instid0(VALU_DEP_1)
	s_mul_i32 s21, s21, s20
	s_wait_alu 0xfffe
	s_mul_hi_u32 s21, s20, s21
	s_wait_alu 0xfffe
	s_add_co_i32 s20, s20, s21
	s_wait_alu 0xfffe
	s_mul_hi_u32 s20, s2, s20
	s_wait_alu 0xfffe
	s_mul_i32 s21, s20, s22
	s_add_co_i32 s23, s20, 1
	s_wait_alu 0xfffe
	s_sub_co_i32 s21, s2, s21
	s_wait_alu 0xfffe
	s_sub_co_i32 s24, s21, s22
	s_cmp_ge_u32 s21, s22
	s_cselect_b32 s20, s23, s20
	s_cselect_b32 s21, s24, s21
	s_wait_alu 0xfffe
	s_add_co_i32 s23, s20, 1
	s_cmp_ge_u32 s21, s22
	s_mov_b32 s21, 0
	s_wait_alu 0xfffe
	s_cselect_b32 s20, s23, s20
.LBB0_6:
	v_mul_u32_u24_e32 v1, 0x1556, v0
	s_load_b64 s[10:11], s[10:11], 0x18
	s_mul_u64 s[14:15], s[16:17], s[14:15]
	s_wait_kmcnt 0x0
	s_mul_u64 s[8:9], s[18:19], s[8:9]
	s_wait_alu 0xfffe
	s_sub_nc_u64 s[14:15], s[2:3], s[14:15]
	v_lshrrev_b32_e32 v44, 16, v1
	s_load_b64 s[2:3], s[0:1], 0x50
	s_mul_u64 s[16:17], s[14:15], 12
	s_wait_alu 0xfffe
	s_mul_u64 s[14:15], s[6:7], s[16:17]
	v_mul_lo_u16 v1, v44, 12
	s_add_nc_u64 s[18:19], s[16:17], 12
	s_wait_alu 0xfffe
	s_add_nc_u64 s[8:9], s[8:9], s[14:15]
	v_cmp_gt_u64_e64 s15, s[18:19], s[12:13]
	v_cmp_le_u64_e64 s14, s[18:19], s[12:13]
	v_sub_nc_u16 v1, v0, v1
	s_delay_alu instid0(VALU_DEP_3) | instskip(NEXT) | instid1(VALU_DEP_1)
	s_and_b32 vcc_lo, exec_lo, s15
	v_and_b32_e32 v41, 0xffff, v1
	s_mul_u64 s[10:11], s[10:11], s[20:21]
	s_delay_alu instid0(SALU_CYCLE_1) | instskip(NEXT) | instid1(VALU_DEP_1)
	s_add_nc_u64 s[8:9], s[10:11], s[8:9]
	v_add_co_u32 v33, s16, s16, v41
	s_wait_alu 0xf1ff
	v_add_co_ci_u32_e64 v34, null, s17, 0, s16
	s_cbranch_vccz .LBB0_12
; %bb.7:
	s_mov_b32 s10, exec_lo
                                        ; implicit-def: $vgpr43
                                        ; implicit-def: $vgpr42
	s_delay_alu instid0(VALU_DEP_1)
	v_cmpx_le_u64_e64 s[12:13], v[33:34]
	s_xor_b32 s10, exec_lo, s10
; %bb.8:
	v_add_nc_u32_e32 v43, 20, v44
	v_add_nc_u32_e32 v42, 40, v44
; %bb.9:
	s_or_saveexec_b32 s10, s10
                                        ; implicit-def: $vgpr1
                                        ; implicit-def: $vgpr17
                                        ; implicit-def: $vgpr13
                                        ; implicit-def: $vgpr15
                                        ; implicit-def: $vgpr9
                                        ; implicit-def: $vgpr11
                                        ; implicit-def: $vgpr23
                                        ; implicit-def: $vgpr19
                                        ; implicit-def: $vgpr21
                                        ; implicit-def: $vgpr7
                                        ; implicit-def: $vgpr3
                                        ; implicit-def: $vgpr5
	s_delay_alu instid0(SALU_CYCLE_1)
	s_xor_b32 exec_lo, exec_lo, s10
	s_cbranch_execz .LBB0_11
; %bb.10:
	v_mad_co_u64_u32 v[1:2], null, s6, v41, 0
	v_mad_co_u64_u32 v[3:4], null, s4, v44, 0
	s_lshl_b64 s[16:17], s[8:9], 3
	v_add_nc_u32_e32 v43, 20, v44
	s_wait_kmcnt 0x0
	s_wait_alu 0xfffe
	s_add_nc_u64 s[16:17], s[2:3], s[16:17]
	v_add_nc_u32_e32 v21, 0xc8, v44
	v_add_nc_u32_e32 v25, 0x64, v44
	v_or_b32_e32 v30, 0xa0, v44
	v_mad_co_u64_u32 v[5:6], null, s7, v41, v[2:3]
	v_add_nc_u32_e32 v13, 60, v44
	v_add_nc_u32_e32 v31, 0xdc, v44
	;; [unrolled: 1-line block ×5, first 2 shown]
	v_mov_b32_e32 v2, v5
	v_mad_co_u64_u32 v[6:7], null, s4, v13, 0
	v_add_nc_u32_e32 v14, 0x78, v44
	v_mad_co_u64_u32 v[10:11], null, s5, v44, v[4:5]
	v_add_nc_u32_e32 v15, 0xb4, v44
	v_lshlrev_b64_e32 v[1:2], 3, v[1:2]
	v_mad_co_u64_u32 v[16:17], null, s4, v20, 0
	v_mov_b32_e32 v5, v7
	v_mad_co_u64_u32 v[8:9], null, s4, v14, 0
	v_mov_b32_e32 v4, v10
	v_mad_co_u64_u32 v[11:12], null, s4, v15, 0
	s_wait_alu 0xfffe
	v_add_co_u32 v32, vcc_lo, s16, v1
	s_delay_alu instid0(VALU_DEP_3) | instskip(SKIP_3) | instid1(VALU_DEP_3)
	v_lshlrev_b64_e32 v[3:4], 3, v[3:4]
	v_mov_b32_e32 v7, v9
	v_mad_co_u64_u32 v[9:10], null, s5, v13, v[5:6]
	v_add_co_ci_u32_e32 v36, vcc_lo, s17, v2, vcc_lo
	v_mad_co_u64_u32 v[13:14], null, s5, v14, v[7:8]
	v_add_co_u32 v1, vcc_lo, v32, v3
	s_delay_alu instid0(VALU_DEP_4)
	v_mov_b32_e32 v7, v9
	s_wait_alu 0xfffd
	v_add_co_ci_u32_e32 v2, vcc_lo, v36, v4, vcc_lo
	v_mov_b32_e32 v3, v12
	v_mov_b32_e32 v9, v13
	v_lshlrev_b64_e32 v[4:5], 3, v[6:7]
	s_delay_alu instid0(VALU_DEP_1) | instskip(NEXT) | instid1(VALU_DEP_3)
	v_mad_co_u64_u32 v[6:7], null, s5, v15, v[3:4]
	v_lshlrev_b64_e32 v[7:8], 3, v[8:9]
	v_mad_co_u64_u32 v[9:10], null, s4, v43, 0
	v_add_co_u32 v3, vcc_lo, v32, v4
	s_wait_alu 0xfffd
	v_add_co_ci_u32_e32 v4, vcc_lo, v36, v5, vcc_lo
	v_mov_b32_e32 v12, v6
	v_add_co_u32 v7, vcc_lo, v32, v7
	v_mov_b32_e32 v5, v10
	s_wait_alu 0xfffd
	v_add_co_ci_u32_e32 v8, vcc_lo, v36, v8, vcc_lo
	v_lshlrev_b64_e32 v[10:11], 3, v[11:12]
	v_mad_co_u64_u32 v[12:13], null, s4, v18, 0
	v_mad_co_u64_u32 v[5:6], null, s5, v43, v[5:6]
	s_delay_alu instid0(VALU_DEP_3) | instskip(SKIP_1) | instid1(VALU_DEP_4)
	v_add_co_u32 v14, vcc_lo, v32, v10
	s_wait_alu 0xfffd
	v_add_co_ci_u32_e32 v15, vcc_lo, v36, v11, vcc_lo
	s_delay_alu instid0(VALU_DEP_4) | instskip(NEXT) | instid1(VALU_DEP_4)
	v_dual_mov_b32 v6, v13 :: v_dual_mov_b32 v11, v17
	v_mov_b32_e32 v10, v5
	s_delay_alu instid0(VALU_DEP_2)
	v_mad_co_u64_u32 v[18:19], null, s5, v18, v[6:7]
	s_clause 0x3
	global_load_b64 v[5:6], v[1:2], off
	global_load_b64 v[3:4], v[3:4], off
	global_load_b64 v[7:8], v[7:8], off
	global_load_b64 v[1:2], v[14:15], off
	v_mad_co_u64_u32 v[14:15], null, s5, v20, v[11:12]
	v_lshlrev_b64_e32 v[9:10], 3, v[9:10]
	v_mov_b32_e32 v13, v18
	v_mad_co_u64_u32 v[18:19], null, s4, v21, 0
	s_delay_alu instid0(VALU_DEP_4) | instskip(SKIP_1) | instid1(VALU_DEP_4)
	v_mov_b32_e32 v17, v14
	v_mad_co_u64_u32 v[14:15], null, s4, v42, 0
	v_lshlrev_b64_e32 v[11:12], 3, v[12:13]
	v_add_co_u32 v9, vcc_lo, v32, v9
	v_mov_b32_e32 v13, v19
	s_wait_alu 0xfffd
	v_add_co_ci_u32_e32 v10, vcc_lo, v36, v10, vcc_lo
	s_delay_alu instid0(VALU_DEP_4) | instskip(NEXT) | instid1(VALU_DEP_3)
	v_add_co_u32 v11, vcc_lo, v32, v11
	v_mad_co_u64_u32 v[19:20], null, s5, v21, v[13:14]
	v_mad_co_u64_u32 v[20:21], null, s4, v25, 0
	v_mov_b32_e32 v13, v15
	v_lshlrev_b64_e32 v[15:16], 3, v[16:17]
	s_wait_alu 0xfffd
	v_add_co_ci_u32_e32 v12, vcc_lo, v36, v12, vcc_lo
	s_delay_alu instid0(VALU_DEP_3) | instskip(SKIP_3) | instid1(VALU_DEP_3)
	v_mad_co_u64_u32 v[22:23], null, s5, v42, v[13:14]
	v_mov_b32_e32 v13, v21
	v_mad_co_u64_u32 v[23:24], null, s4, v30, 0
	v_add_co_u32 v28, vcc_lo, v32, v15
	v_mad_co_u64_u32 v[25:26], null, s5, v25, v[13:14]
	v_mad_co_u64_u32 v[26:27], null, s4, v31, 0
	s_delay_alu instid0(VALU_DEP_4)
	v_mov_b32_e32 v13, v24
	v_mov_b32_e32 v15, v22
	s_wait_alu 0xfffd
	v_add_co_ci_u32_e32 v29, vcc_lo, v36, v16, vcc_lo
	v_lshlrev_b64_e32 v[16:17], 3, v[18:19]
	v_mad_co_u64_u32 v[18:19], null, s5, v30, v[13:14]
	v_lshlrev_b64_e32 v[14:15], 3, v[14:15]
	v_mov_b32_e32 v13, v27
	v_mov_b32_e32 v21, v25
	v_add_co_u32 v16, vcc_lo, v32, v16
	s_wait_alu 0xfffd
	v_add_co_ci_u32_e32 v17, vcc_lo, v36, v17, vcc_lo
	v_mov_b32_e32 v24, v18
	v_mad_co_u64_u32 v[30:31], null, s5, v31, v[13:14]
	v_lshlrev_b64_e32 v[19:20], 3, v[20:21]
	v_add_co_u32 v13, vcc_lo, v32, v14
	s_delay_alu instid0(VALU_DEP_4)
	v_lshlrev_b64_e32 v[21:22], 3, v[23:24]
	s_wait_alu 0xfffd
	v_add_co_ci_u32_e32 v14, vcc_lo, v36, v15, vcc_lo
	v_mov_b32_e32 v27, v30
	v_add_co_u32 v30, vcc_lo, v32, v19
	s_wait_alu 0xfffd
	v_add_co_ci_u32_e32 v31, vcc_lo, v36, v20, vcc_lo
	s_delay_alu instid0(VALU_DEP_3) | instskip(SKIP_3) | instid1(VALU_DEP_3)
	v_lshlrev_b64_e32 v[18:19], 3, v[26:27]
	v_add_co_u32 v25, vcc_lo, v32, v21
	s_wait_alu 0xfffd
	v_add_co_ci_u32_e32 v26, vcc_lo, v36, v22, vcc_lo
	v_add_co_u32 v35, vcc_lo, v32, v18
	s_wait_alu 0xfffd
	v_add_co_ci_u32_e32 v36, vcc_lo, v36, v19, vcc_lo
	s_clause 0x7
	global_load_b64 v[21:22], v[9:10], off
	global_load_b64 v[19:20], v[11:12], off
	;; [unrolled: 1-line block ×8, first 2 shown]
.LBB0_11:
	s_or_b32 exec_lo, exec_lo, s10
	s_load_b64 s[10:11], s[0:1], 0x0
	v_add_nc_u32_e32 v47, 60, v44
	s_cbranch_execz .LBB0_13
	s_branch .LBB0_14
.LBB0_12:
                                        ; implicit-def: $vgpr1
                                        ; implicit-def: $vgpr17
                                        ; implicit-def: $vgpr13
                                        ; implicit-def: $vgpr15
                                        ; implicit-def: $vgpr9
                                        ; implicit-def: $vgpr11
                                        ; implicit-def: $vgpr23
                                        ; implicit-def: $vgpr19
                                        ; implicit-def: $vgpr21
                                        ; implicit-def: $vgpr7
                                        ; implicit-def: $vgpr3
                                        ; implicit-def: $vgpr5
                                        ; implicit-def: $vgpr43
                                        ; implicit-def: $vgpr42
	s_load_b64 s[10:11], s[0:1], 0x0
	v_add_nc_u32_e32 v47, 60, v44
.LBB0_13:
	s_wait_loadcnt 0x8
	v_mad_co_u64_u32 v[1:2], null, s6, v41, 0
	v_mad_co_u64_u32 v[3:4], null, s4, v44, 0
	s_delay_alu instid0(VALU_DEP_3)
	v_mad_co_u64_u32 v[5:6], null, s4, v47, 0
	s_lshl_b64 s[16:17], s[8:9], 3
	v_add_nc_u32_e32 v43, 20, v44
	s_wait_kmcnt 0x0
	s_wait_alu 0xfffe
	s_add_nc_u64 s[16:17], s[2:3], s[16:17]
	s_wait_loadcnt 0x7
	v_add_nc_u32_e32 v21, 0xc8, v44
	v_mad_co_u64_u32 v[7:8], null, s7, v41, v[2:3]
	s_wait_loadcnt 0x0
	v_add_nc_u32_e32 v13, 0x78, v44
	v_mad_co_u64_u32 v[10:11], null, s5, v44, v[4:5]
	v_add_nc_u32_e32 v15, 0xb4, v44
	v_add_nc_u32_e32 v25, 0x64, v44
	v_or_b32_e32 v30, 0xa0, v44
	v_mov_b32_e32 v2, v7
	v_mad_co_u64_u32 v[8:9], null, s4, v13, 0
	v_mov_b32_e32 v4, v10
	v_mad_co_u64_u32 v[11:12], null, s4, v15, 0
	s_delay_alu instid0(VALU_DEP_4) | instskip(SKIP_1) | instid1(VALU_DEP_4)
	v_lshlrev_b64_e32 v[1:2], 3, v[1:2]
	v_add_nc_u32_e32 v31, 0xdc, v44
	v_lshlrev_b64_e32 v[3:4], 3, v[3:4]
	v_dual_mov_b32 v7, v9 :: v_dual_add_nc_u32 v18, 0x50, v44
	v_add_nc_u32_e32 v20, 0x8c, v44
	s_wait_alu 0xfffe
	v_add_co_u32 v32, vcc_lo, s16, v1
	s_delay_alu instid0(VALU_DEP_3) | instskip(SKIP_2) | instid1(VALU_DEP_3)
	v_mad_co_u64_u32 v[9:10], null, s5, v47, v[6:7]
	s_wait_alu 0xfffd
	v_add_co_ci_u32_e32 v36, vcc_lo, s17, v2, vcc_lo
	v_add_co_u32 v1, vcc_lo, v32, v3
	v_mov_b32_e32 v3, v12
	s_wait_alu 0xfffd
	s_delay_alu instid0(VALU_DEP_3) | instskip(SKIP_3) | instid1(VALU_DEP_3)
	v_add_co_ci_u32_e32 v2, vcc_lo, v36, v4, vcc_lo
	v_mov_b32_e32 v6, v9
	v_mad_co_u64_u32 v[13:14], null, s5, v13, v[7:8]
	v_mad_co_u64_u32 v[16:17], null, s4, v20, 0
	v_lshlrev_b64_e32 v[4:5], 3, v[5:6]
	s_delay_alu instid0(VALU_DEP_3) | instskip(NEXT) | instid1(VALU_DEP_2)
	v_dual_mov_b32 v9, v13 :: v_dual_add_nc_u32 v42, 40, v44
	v_mad_co_u64_u32 v[6:7], null, s5, v15, v[3:4]
	v_add_co_u32 v3, vcc_lo, v32, v4
	s_delay_alu instid0(VALU_DEP_3) | instskip(SKIP_4) | instid1(VALU_DEP_4)
	v_lshlrev_b64_e32 v[7:8], 3, v[8:9]
	v_mad_co_u64_u32 v[9:10], null, s4, v43, 0
	s_wait_alu 0xfffd
	v_add_co_ci_u32_e32 v4, vcc_lo, v36, v5, vcc_lo
	v_mov_b32_e32 v12, v6
	v_add_co_u32 v7, vcc_lo, v32, v7
	s_wait_alu 0xfffd
	v_add_co_ci_u32_e32 v8, vcc_lo, v36, v8, vcc_lo
	v_mov_b32_e32 v5, v10
	v_lshlrev_b64_e32 v[10:11], 3, v[11:12]
	v_mad_co_u64_u32 v[12:13], null, s4, v18, 0
	s_delay_alu instid0(VALU_DEP_3) | instskip(NEXT) | instid1(VALU_DEP_3)
	v_mad_co_u64_u32 v[5:6], null, s5, v43, v[5:6]
	v_add_co_u32 v14, vcc_lo, v32, v10
	s_wait_alu 0xfffd
	s_delay_alu instid0(VALU_DEP_4) | instskip(NEXT) | instid1(VALU_DEP_4)
	v_add_co_ci_u32_e32 v15, vcc_lo, v36, v11, vcc_lo
	v_dual_mov_b32 v6, v13 :: v_dual_mov_b32 v11, v17
	s_delay_alu instid0(VALU_DEP_4) | instskip(NEXT) | instid1(VALU_DEP_2)
	v_mov_b32_e32 v10, v5
	v_mad_co_u64_u32 v[18:19], null, s5, v18, v[6:7]
	s_clause 0x3
	global_load_b64 v[5:6], v[1:2], off
	global_load_b64 v[3:4], v[3:4], off
	;; [unrolled: 1-line block ×4, first 2 shown]
	v_mad_co_u64_u32 v[14:15], null, s5, v20, v[11:12]
	v_lshlrev_b64_e32 v[9:10], 3, v[9:10]
	v_mov_b32_e32 v13, v18
	v_mad_co_u64_u32 v[18:19], null, s4, v21, 0
	s_delay_alu instid0(VALU_DEP_4) | instskip(SKIP_1) | instid1(VALU_DEP_4)
	v_mov_b32_e32 v17, v14
	v_mad_co_u64_u32 v[14:15], null, s4, v42, 0
	v_lshlrev_b64_e32 v[11:12], 3, v[12:13]
	v_add_co_u32 v9, vcc_lo, v32, v9
	v_mov_b32_e32 v13, v19
	s_wait_alu 0xfffd
	v_add_co_ci_u32_e32 v10, vcc_lo, v36, v10, vcc_lo
	s_delay_alu instid0(VALU_DEP_4) | instskip(NEXT) | instid1(VALU_DEP_3)
	v_add_co_u32 v11, vcc_lo, v32, v11
	v_mad_co_u64_u32 v[19:20], null, s5, v21, v[13:14]
	v_mad_co_u64_u32 v[20:21], null, s4, v25, 0
	v_mov_b32_e32 v13, v15
	v_lshlrev_b64_e32 v[15:16], 3, v[16:17]
	s_wait_alu 0xfffd
	v_add_co_ci_u32_e32 v12, vcc_lo, v36, v12, vcc_lo
	s_delay_alu instid0(VALU_DEP_3) | instskip(SKIP_3) | instid1(VALU_DEP_3)
	v_mad_co_u64_u32 v[22:23], null, s5, v42, v[13:14]
	v_mov_b32_e32 v13, v21
	v_mad_co_u64_u32 v[23:24], null, s4, v30, 0
	v_add_co_u32 v28, vcc_lo, v32, v15
	v_mad_co_u64_u32 v[25:26], null, s5, v25, v[13:14]
	v_mad_co_u64_u32 v[26:27], null, s4, v31, 0
	s_delay_alu instid0(VALU_DEP_4)
	v_mov_b32_e32 v13, v24
	v_mov_b32_e32 v15, v22
	s_wait_alu 0xfffd
	v_add_co_ci_u32_e32 v29, vcc_lo, v36, v16, vcc_lo
	v_lshlrev_b64_e32 v[16:17], 3, v[18:19]
	v_mad_co_u64_u32 v[18:19], null, s5, v30, v[13:14]
	v_lshlrev_b64_e32 v[14:15], 3, v[14:15]
	v_mov_b32_e32 v13, v27
	v_mov_b32_e32 v21, v25
	v_add_co_u32 v16, vcc_lo, v32, v16
	s_wait_alu 0xfffd
	v_add_co_ci_u32_e32 v17, vcc_lo, v36, v17, vcc_lo
	v_mad_co_u64_u32 v[30:31], null, s5, v31, v[13:14]
	v_mov_b32_e32 v24, v18
	v_lshlrev_b64_e32 v[19:20], 3, v[20:21]
	v_add_co_u32 v13, vcc_lo, v32, v14
	s_wait_alu 0xfffd
	v_add_co_ci_u32_e32 v14, vcc_lo, v36, v15, vcc_lo
	v_mov_b32_e32 v27, v30
	v_lshlrev_b64_e32 v[21:22], 3, v[23:24]
	v_add_co_u32 v30, vcc_lo, v32, v19
	s_wait_alu 0xfffd
	v_add_co_ci_u32_e32 v31, vcc_lo, v36, v20, vcc_lo
	v_lshlrev_b64_e32 v[18:19], 3, v[26:27]
	s_delay_alu instid0(VALU_DEP_4) | instskip(SKIP_2) | instid1(VALU_DEP_3)
	v_add_co_u32 v25, vcc_lo, v32, v21
	s_wait_alu 0xfffd
	v_add_co_ci_u32_e32 v26, vcc_lo, v36, v22, vcc_lo
	v_add_co_u32 v35, vcc_lo, v32, v18
	s_wait_alu 0xfffd
	v_add_co_ci_u32_e32 v36, vcc_lo, v36, v19, vcc_lo
	s_clause 0x7
	global_load_b64 v[21:22], v[9:10], off
	global_load_b64 v[19:20], v[11:12], off
	;; [unrolled: 1-line block ×8, first 2 shown]
.LBB0_14:
	s_wait_loadcnt 0x9
	v_dual_sub_f32 v25, v5, v7 :: v_dual_sub_f32 v8, v6, v8
	s_wait_loadcnt 0x8
	v_dual_sub_f32 v1, v3, v1 :: v_dual_sub_f32 v2, v4, v2
	;; [unrolled: 2-line block ×3, first 2 shown]
	v_fma_f32 v7, v5, 2.0, -v25
	s_delay_alu instid0(VALU_DEP_3)
	v_fma_f32 v3, v3, 2.0, -v1
	v_fma_f32 v26, v6, 2.0, -v8
	;; [unrolled: 1-line block ×3, first 2 shown]
	s_wait_loadcnt 0x4
	v_sub_f32_e32 v27, v20, v18
	v_sub_f32_e32 v6, v25, v2
	;; [unrolled: 1-line block ×4, first 2 shown]
	s_wait_loadcnt 0x1
	v_dual_sub_f32 v5, v26, v5 :: v_dual_sub_f32 v16, v12, v16
	v_fma_f32 v2, v22, 2.0, -v24
	v_fma_f32 v17, v7, 2.0, -v4
	;; [unrolled: 1-line block ×3, first 2 shown]
	v_add_f32_e32 v7, v8, v1
	v_fma_f32 v1, v21, 2.0, -v23
	v_fma_f32 v21, v19, 2.0, -v3
	;; [unrolled: 1-line block ×3, first 2 shown]
	v_sub_f32_e32 v22, v2, v22
	v_fma_f32 v19, v25, 2.0, -v6
	s_wait_loadcnt 0x0
	v_dual_sub_f32 v25, v11, v15 :: v_dual_sub_f32 v26, v9, v13
	v_dual_sub_f32 v21, v1, v21 :: v_dual_sub_f32 v28, v10, v14
	v_fma_f32 v20, v8, 2.0, -v7
	v_fma_f32 v15, v12, 2.0, -v16
	s_delay_alu instid0(VALU_DEP_4) | instskip(NEXT) | instid1(VALU_DEP_4)
	v_fma_f32 v12, v9, 2.0, -v26
	v_fma_f32 v8, v1, 2.0, -v21
	;; [unrolled: 1-line block ×4, first 2 shown]
	v_sub_f32_e32 v10, v23, v27
	v_fma_f32 v9, v2, 2.0, -v22
	v_mul_u32_u24_e32 v2, 48, v44
	v_sub_f32_e32 v35, v1, v12
	v_dual_add_f32 v11, v24, v3 :: v_dual_sub_f32 v36, v15, v13
	v_fma_f32 v12, v23, 2.0, -v10
	v_mul_i32_i24_e32 v3, 48, v43
	v_lshlrev_b32_e32 v23, 3, v2
	v_lshlrev_b32_e32 v48, 3, v41
	v_fma_f32 v13, v24, 2.0, -v11
	v_mul_i32_i24_e32 v24, 48, v42
	v_fma_f32 v14, v1, 2.0, -v35
	v_sub_f32_e32 v1, v25, v28
	v_dual_add_f32 v2, v16, v26 :: v_dual_lshlrev_b32 v27, 3, v3
	v_add3_u32 v26, 0, v23, v48
	v_lshl_add_u32 v3, v24, 3, 0
	s_delay_alu instid0(VALU_DEP_4) | instskip(NEXT) | instid1(VALU_DEP_4)
	v_fma_f32 v23, v25, 2.0, -v1
	v_add3_u32 v25, 0, v27, v48
	v_fma_f32 v15, v15, 2.0, -v36
	v_mad_i32_i24 v45, 0xfffffee0, v44, v26
	v_fma_f32 v24, v16, 2.0, -v2
	v_add_nc_u32_e32 v16, v3, v48
	ds_store_2addr_b64 v26, v[17:18], v[19:20] offset1:12
	ds_store_2addr_b64 v26, v[4:5], v[6:7] offset0:24 offset1:36
	ds_store_2addr_b64 v25, v[8:9], v[12:13] offset1:12
	ds_store_2addr_b64 v25, v[21:22], v[10:11] offset0:24 offset1:36
	ds_store_2addr_b64 v16, v[14:15], v[23:24] offset1:12
	ds_store_2addr_b64 v16, v[35:36], v[1:2] offset0:24 offset1:36
	v_mad_i32_i24 v46, 0xfffffee0, v43, v25
	v_add_nc_u32_e32 v4, 0x2400, v45
	v_add_nc_u32_e32 v5, 0x3600, v45
	v_add_nc_u32_e32 v6, 0x4800, v45
	global_wb scope:SCOPE_SE
	s_wait_dscnt 0x0
	s_wait_kmcnt 0x0
	s_barrier_signal -1
	s_barrier_wait -1
	global_inv scope:SCOPE_SE
	ds_load_2addr_stride64_b64 v[17:20], v45 offset1:9
	ds_load_2addr_b64 v[29:32], v4 offset1:240
	ds_load_2addr_b64 v[25:28], v5 offset1:240
	;; [unrolled: 1-line block ×3, first 2 shown]
	ds_load_b64 v[37:38], v46
	ds_load_b64 v[39:40], v45 offset:6528
	v_cmp_gt_u32_e32 vcc_lo, 0x60, v0
                                        ; kill: def $vgpr4 killed $sgpr0 killed $exec
                                        ; implicit-def: $vgpr8
	s_and_saveexec_b32 s15, vcc_lo
	s_cbranch_execz .LBB0_16
; %bb.15:
	v_mul_i32_i24_e32 v1, 0xfffffee0, v42
	v_add_nc_u32_e32 v5, 0x100, v45
	s_delay_alu instid0(VALU_DEP_2)
	v_add3_u32 v6, v3, v1, v48
	ds_load_2addr_stride64_b64 v[1:4], v5 offset0:16 offset1:25
	ds_load_b64 v[35:36], v6
	ds_load_2addr_stride64_b64 v[5:8], v5 offset0:34 offset1:43
.LBB0_16:
	s_wait_alu 0xfffe
	s_or_b32 exec_lo, exec_lo, s15
	v_and_b32_e32 v49, 3, v44
	v_lshrrev_b32_e32 v50, 2, v43
	v_lshrrev_b32_e32 v51, 2, v44
	s_delay_alu instid0(VALU_DEP_3) | instskip(NEXT) | instid1(VALU_DEP_3)
	v_lshlrev_b32_e32 v9, 5, v49
	v_mul_lo_u32 v50, v50, 20
	s_delay_alu instid0(VALU_DEP_3)
	v_mul_u32_u24_e32 v51, 20, v51
	s_clause 0x1
	global_load_b128 v[13:16], v9, s[10:11]
	global_load_b128 v[9:12], v9, s[10:11] offset:16
	global_wb scope:SCOPE_SE
	s_wait_loadcnt_dscnt 0x0
	s_barrier_signal -1
	s_barrier_wait -1
	global_inv scope:SCOPE_SE
	v_mul_f32_e32 v52, v14, v20
	v_dual_mul_f32 v53, v14, v19 :: v_dual_mul_f32 v58, v12, v22
	v_mul_f32_e32 v54, v16, v30
	v_dual_mul_f32 v55, v16, v29 :: v_dual_mul_f32 v56, v10, v26
	v_dual_mul_f32 v57, v10, v25 :: v_dual_mul_f32 v62, v16, v32
	;; [unrolled: 1-line block ×3, first 2 shown]
	v_fma_f32 v19, v13, v19, -v52
	s_delay_alu instid0(VALU_DEP_4)
	v_fma_f32 v25, v9, v25, -v56
	v_fma_f32 v52, v11, v21, -v58
	v_fmac_f32_e32 v53, v13, v20
	v_fma_f32 v20, v15, v29, -v54
	v_dual_mul_f32 v61, v14, v39 :: v_dual_mul_f32 v66, v12, v24
	v_dual_mul_f32 v63, v16, v31 :: v_dual_mul_f32 v64, v10, v28
	v_mul_f32_e32 v65, v10, v27
	s_delay_alu instid0(VALU_DEP_4)
	v_dual_fmac_f32 v57, v9, v26 :: v_dual_sub_f32 v26, v19, v20
	v_fmac_f32_e32 v59, v11, v22
	v_fmac_f32_e32 v55, v15, v30
	v_mul_f32_e32 v67, v12, v23
	v_fma_f32 v21, v13, v39, -v60
	v_fmac_f32_e32 v61, v13, v40
	v_fma_f32 v22, v15, v31, -v62
	v_dual_fmac_f32 v63, v15, v32 :: v_dual_sub_f32 v60, v20, v25
	v_fma_f32 v27, v9, v27, -v64
	v_sub_f32_e32 v40, v55, v57
	v_dual_fmac_f32 v67, v11, v24 :: v_dual_add_f32 v24, v20, v25
	v_fmac_f32_e32 v65, v9, v28
	v_fma_f32 v39, v11, v23, -v66
	v_dual_add_f32 v23, v17, v19 :: v_dual_sub_f32 v58, v19, v52
	v_sub_f32_e32 v28, v52, v25
	v_sub_f32_e32 v30, v20, v19
	v_dual_sub_f32 v32, v53, v59 :: v_dual_add_f32 v29, v19, v52
	v_add_f32_e32 v66, v53, v59
	v_add_f32_e32 v54, v18, v53
	;; [unrolled: 1-line block ×3, first 2 shown]
	v_dual_add_f32 v69, v37, v21 :: v_dual_add_f32 v70, v22, v27
	v_dual_add_f32 v79, v63, v65 :: v_dual_sub_f32 v80, v21, v39
	v_dual_sub_f32 v31, v25, v52 :: v_dual_sub_f32 v64, v59, v57
	v_dual_sub_f32 v62, v53, v55 :: v_dual_sub_f32 v53, v55, v53
	v_sub_f32_e32 v68, v57, v59
	v_dual_add_f32 v75, v21, v39 :: v_dual_sub_f32 v76, v22, v21
	v_dual_sub_f32 v77, v27, v39 :: v_dual_add_f32 v78, v38, v61
	v_dual_add_f32 v84, v61, v67 :: v_dual_add_f32 v23, v23, v20
	v_fma_f32 v19, -0.5, v24, v17
	v_add_f32_e32 v24, v54, v55
	v_fma_f32 v17, -0.5, v29, v17
	v_fma_f32 v20, -0.5, v56, v18
	;; [unrolled: 1-line block ×3, first 2 shown]
	v_dual_sub_f32 v71, v61, v67 :: v_dual_sub_f32 v72, v63, v65
	v_dual_sub_f32 v73, v21, v22 :: v_dual_sub_f32 v74, v39, v27
	v_sub_f32_e32 v81, v22, v27
	v_dual_sub_f32 v85, v65, v67 :: v_dual_add_f32 v86, v26, v28
	v_add_f32_e32 v28, v69, v22
	v_fma_f32 v21, -0.5, v70, v37
	v_fma_f32 v22, -0.5, v79, v38
	v_dual_sub_f32 v82, v61, v63 :: v_dual_sub_f32 v83, v67, v65
	v_sub_f32_e32 v61, v63, v61
	v_dual_add_f32 v87, v30, v31 :: v_dual_add_f32 v56, v76, v77
	v_dual_add_f32 v53, v53, v68 :: v_dual_add_f32 v30, v78, v63
	v_fma_f32 v37, -0.5, v75, v37
	v_dual_fmac_f32 v38, -0.5, v84 :: v_dual_add_f32 v31, v23, v25
	v_or_b32_e32 v50, v50, v49
	v_or_b32_e32 v51, v51, v49
	v_fmamk_f32 v23, v32, 0x3f737871, v19
	v_fmac_f32_e32 v19, 0xbf737871, v32
	v_fmamk_f32 v25, v40, 0xbf737871, v17
	v_dual_add_f32 v57, v24, v57 :: v_dual_fmamk_f32 v24, v58, 0xbf737871, v20
	v_dual_fmac_f32 v17, 0x3f737871, v40 :: v_dual_fmamk_f32 v26, v60, 0x3f737871, v18
	v_fmac_f32_e32 v18, 0xbf737871, v60
	v_dual_fmac_f32 v20, 0x3f737871, v58 :: v_dual_add_f32 v63, v28, v27
	v_fmamk_f32 v27, v71, 0x3f737871, v21
	v_dual_fmac_f32 v21, 0xbf737871, v71 :: v_dual_fmamk_f32 v28, v80, 0xbf737871, v22
	v_dual_add_f32 v54, v62, v64 :: v_dual_add_f32 v55, v73, v74
	v_dual_fmamk_f32 v29, v72, 0xbf737871, v37 :: v_dual_add_f32 v64, v30, v65
	v_fmac_f32_e32 v22, 0x3f737871, v80
	v_dual_fmac_f32 v37, 0x3f737871, v72 :: v_dual_fmamk_f32 v30, v81, 0x3f737871, v38
	v_fmac_f32_e32 v38, 0xbf737871, v81
	v_mul_lo_u32 v50, 0x60, v50
	v_mul_u32_u24_e32 v51, 0x60, v51
	v_dual_fmac_f32 v23, 0x3f167918, v40 :: v_dual_fmac_f32 v18, 0x3f167918, v58
	v_dual_fmac_f32 v25, 0x3f167918, v32 :: v_dual_fmac_f32 v22, 0x3f167918, v81
	v_dual_fmac_f32 v24, 0xbf167918, v60 :: v_dual_add_f32 v39, v63, v39
	v_dual_add_f32 v31, v31, v52 :: v_dual_fmac_f32 v26, 0xbf167918, v58
	v_dual_fmac_f32 v19, 0xbf167918, v40 :: v_dual_add_f32 v40, v64, v67
	v_dual_fmac_f32 v17, 0xbf167918, v32 :: v_dual_fmac_f32 v28, 0xbf167918, v81
	v_dual_fmac_f32 v20, 0x3f167918, v60 :: v_dual_fmac_f32 v29, 0x3f167918, v71
	v_dual_add_f32 v62, v82, v83 :: v_dual_add_f32 v61, v61, v85
	v_dual_fmac_f32 v27, 0x3f167918, v72 :: v_dual_add_f32 v32, v57, v59
	v_dual_fmac_f32 v37, 0xbf167918, v71 :: v_dual_fmac_f32 v30, 0xbf167918, v80
	v_fmac_f32_e32 v38, 0x3f167918, v80
	v_add3_u32 v51, 0, v51, v48
	v_fmac_f32_e32 v21, 0xbf167918, v72
	v_dual_fmac_f32 v23, 0x3e9e377a, v86 :: v_dual_fmac_f32 v26, 0x3e9e377a, v53
	v_dual_fmac_f32 v25, 0x3e9e377a, v87 :: v_dual_fmac_f32 v24, 0x3e9e377a, v54
	;; [unrolled: 1-line block ×4, first 2 shown]
	v_add3_u32 v50, 0, v50, v48
	v_dual_fmac_f32 v27, 0x3e9e377a, v55 :: v_dual_fmac_f32 v28, 0x3e9e377a, v62
	v_dual_fmac_f32 v29, 0x3e9e377a, v56 :: v_dual_fmac_f32 v30, 0x3e9e377a, v61
	;; [unrolled: 1-line block ×4, first 2 shown]
	ds_store_2addr_b64 v51, v[31:32], v[23:24] offset1:48
	ds_store_2addr_b64 v51, v[25:26], v[17:18] offset0:96 offset1:144
	ds_store_b64 v51, v[19:20] offset:1536
	ds_store_2addr_b64 v50, v[39:40], v[27:28] offset1:48
	ds_store_2addr_b64 v50, v[29:30], v[37:38] offset0:96 offset1:144
	ds_store_b64 v50, v[21:22] offset:1536
	s_and_saveexec_b32 s15, vcc_lo
	s_cbranch_execz .LBB0_18
; %bb.17:
	v_dual_mul_f32 v17, v1, v14 :: v_dual_mul_f32 v18, v7, v12
	v_dual_mul_f32 v14, v2, v14 :: v_dual_mul_f32 v19, v3, v16
	s_delay_alu instid0(VALU_DEP_2) | instskip(NEXT) | instid1(VALU_DEP_2)
	v_dual_mul_f32 v16, v4, v16 :: v_dual_fmac_f32 v17, v2, v13
	v_fma_f32 v13, v1, v13, -v14
	s_delay_alu instid0(VALU_DEP_3) | instskip(NEXT) | instid1(VALU_DEP_3)
	v_dual_mul_f32 v14, v5, v10 :: v_dual_fmac_f32 v19, v4, v15
	v_fma_f32 v15, v3, v15, -v16
	s_delay_alu instid0(VALU_DEP_3) | instskip(SKIP_1) | instid1(VALU_DEP_2)
	v_dual_mul_f32 v3, v6, v10 :: v_dual_add_f32 v2, v35, v13
	v_add_f32_e32 v1, v36, v17
	v_fma_f32 v5, v5, v9, -v3
	s_delay_alu instid0(VALU_DEP_3) | instskip(NEXT) | instid1(VALU_DEP_3)
	v_add_f32_e32 v2, v2, v15
	v_dual_fmac_f32 v14, v6, v9 :: v_dual_add_f32 v1, v1, v19
	s_delay_alu instid0(VALU_DEP_1) | instskip(NEXT) | instid1(VALU_DEP_1)
	v_dual_fmac_f32 v18, v8, v11 :: v_dual_add_f32 v1, v1, v14
	v_dual_mul_f32 v3, v8, v12 :: v_dual_add_f32 v4, v17, v18
	v_sub_f32_e32 v8, v14, v18
	v_sub_f32_e32 v16, v18, v14
	s_delay_alu instid0(VALU_DEP_3)
	v_fma_f32 v10, v7, v11, -v3
	v_add_f32_e32 v9, v2, v5
	v_fma_f32 v2, -0.5, v4, v36
	v_sub_f32_e32 v11, v15, v5
	v_add_f32_e32 v3, v19, v14
	v_sub_f32_e32 v12, v13, v10
	v_sub_f32_e32 v14, v19, v14
	s_delay_alu instid0(VALU_DEP_4) | instskip(SKIP_2) | instid1(VALU_DEP_3)
	v_fmamk_f32 v4, v11, 0xbf737871, v2
	v_dual_fmac_f32 v2, 0x3f737871, v11 :: v_dual_sub_f32 v7, v19, v17
	v_fmac_f32_e32 v36, -0.5, v3
	v_dual_sub_f32 v3, v17, v19 :: v_dual_fmac_f32 v4, 0x3f167918, v12
	v_add_f32_e32 v19, v15, v5
	s_delay_alu instid0(VALU_DEP_4) | instskip(NEXT) | instid1(VALU_DEP_4)
	v_add_f32_e32 v20, v7, v8
	v_dual_fmamk_f32 v6, v12, 0x3f737871, v36 :: v_dual_add_f32 v7, v9, v10
	v_lshrrev_b32_e32 v9, 2, v42
	v_add_f32_e32 v8, v1, v18
	v_dual_add_f32 v1, v13, v10 :: v_dual_fmac_f32 v2, 0xbf167918, v12
	v_fmac_f32_e32 v4, 0x3e9e377a, v20
	s_delay_alu instid0(VALU_DEP_4) | instskip(NEXT) | instid1(VALU_DEP_3)
	v_mul_lo_u32 v9, v9, 20
	v_fma_f32 v1, -0.5, v1, v35
	v_add_f32_e32 v16, v3, v16
	v_dual_fmac_f32 v36, 0xbf737871, v12 :: v_dual_sub_f32 v3, v15, v13
	v_sub_f32_e32 v12, v5, v10
	v_fmac_f32_e32 v6, 0x3f167918, v11
	v_fmac_f32_e32 v35, -0.5, v19
	s_delay_alu instid0(VALU_DEP_4) | instskip(SKIP_3) | instid1(VALU_DEP_3)
	v_fmac_f32_e32 v36, 0xbf167918, v11
	v_or_b32_e32 v9, v9, v49
	v_dual_add_f32 v11, v3, v12 :: v_dual_sub_f32 v12, v17, v18
	v_dual_sub_f32 v13, v13, v15 :: v_dual_sub_f32 v10, v10, v5
	v_mul_lo_u32 v9, 0x60, v9
	s_delay_alu instid0(VALU_DEP_3) | instskip(SKIP_3) | instid1(VALU_DEP_4)
	v_fmamk_f32 v5, v12, 0xbf737871, v35
	v_fmac_f32_e32 v35, 0x3f737871, v12
	v_fmamk_f32 v3, v14, 0x3f737871, v1
	v_fmac_f32_e32 v1, 0xbf737871, v14
	v_fmac_f32_e32 v5, 0xbf167918, v14
	s_delay_alu instid0(VALU_DEP_4) | instskip(NEXT) | instid1(VALU_DEP_3)
	v_fmac_f32_e32 v35, 0x3f167918, v14
	v_dual_add_f32 v10, v13, v10 :: v_dual_fmac_f32 v1, 0x3f167918, v12
	v_fmac_f32_e32 v3, 0xbf167918, v12
	v_fmac_f32_e32 v6, 0x3e9e377a, v16
	s_delay_alu instid0(VALU_DEP_3)
	v_dual_fmac_f32 v36, 0x3e9e377a, v16 :: v_dual_fmac_f32 v5, 0x3e9e377a, v10
	v_fmac_f32_e32 v35, 0x3e9e377a, v10
	v_add3_u32 v9, 0, v9, v48
	v_dual_fmac_f32 v2, 0x3e9e377a, v20 :: v_dual_fmac_f32 v3, 0x3e9e377a, v11
	v_fmac_f32_e32 v1, 0x3e9e377a, v11
	ds_store_2addr_b64 v9, v[7:8], v[35:36] offset1:48
	ds_store_2addr_b64 v9, v[1:2], v[3:4] offset0:96 offset1:144
	ds_store_b64 v9, v[5:6] offset:1536
.LBB0_18:
	s_wait_alu 0xfffe
	s_or_b32 exec_lo, exec_lo, s15
	v_mul_lo_u16 v1, v44, 13
	v_and_b32_e32 v2, 0xff, v43
	global_wb scope:SCOPE_SE
	s_wait_dscnt 0x0
	s_barrier_signal -1
	s_barrier_wait -1
	v_lshrrev_b16 v32, 8, v1
	v_and_b32_e32 v1, 0xff, v42
	v_mul_lo_u16 v2, 0xcd, v2
	global_inv scope:SCOPE_SE
	v_cmp_gt_u64_e32 vcc_lo, s[12:13], v[33:34]
	v_mul_lo_u16 v3, v32, 20
	v_mul_lo_u16 v4, 0xcd, v1
	v_lshrrev_b16 v40, 12, v2
	v_mul_i32_i24_e32 v39, 0x60, v42
	s_or_b32 s12, s14, vcc_lo
	v_sub_nc_u16 v2, v44, v3
	v_mul_lo_u16 v3, 0x67, v47
	v_lshrrev_b16 v51, 12, v4
	v_mul_lo_u16 v4, v40, 20
	s_delay_alu instid0(VALU_DEP_4) | instskip(NEXT) | instid1(VALU_DEP_4)
	v_and_b32_e32 v52, 0xff, v2
	v_lshrrev_b16 v38, 11, v3
	s_delay_alu instid0(VALU_DEP_4) | instskip(NEXT) | instid1(VALU_DEP_4)
	v_mul_lo_u16 v2, v51, 20
	v_sub_nc_u16 v3, v43, v4
	s_delay_alu instid0(VALU_DEP_4) | instskip(NEXT) | instid1(VALU_DEP_4)
	v_lshlrev_b32_e32 v4, 4, v52
	v_mul_lo_u16 v8, v38, 20
	s_delay_alu instid0(VALU_DEP_4) | instskip(NEXT) | instid1(VALU_DEP_4)
	v_sub_nc_u16 v2, v42, v2
	v_and_b32_e32 v55, 0xff, v3
	global_load_b128 v[4:7], v4, s[10:11] offset:128
	v_sub_nc_u16 v3, v47, v8
	v_and_b32_e32 v56, 0xff, v2
	v_lshlrev_b32_e32 v2, 4, v55
	v_mul_u32_u24_e32 v47, 0x60, v47
	s_delay_alu instid0(VALU_DEP_4) | instskip(NEXT) | instid1(VALU_DEP_4)
	v_and_b32_e32 v53, 0xff, v3
	v_lshlrev_b32_e32 v3, 4, v56
	global_load_b128 v[8:11], v2, s[10:11] offset:128
	v_lshlrev_b32_e32 v2, 4, v53
	s_clause 0x1
	global_load_b128 v[12:15], v3, s[10:11] offset:128
	global_load_b128 v[16:19], v2, s[10:11] offset:128
	ds_load_2addr_stride64_b64 v[20:23], v45 offset1:15
	v_and_b32_e32 v40, 0xffff, v40
	v_and_b32_e32 v57, 0xffff, v51
	v_add_nc_u32_e32 v2, 0x3480, v45
	s_delay_alu instid0(VALU_DEP_3) | instskip(NEXT) | instid1(VALU_DEP_3)
	v_mad_u32_u24 v40, v40, 60, v55
	v_mad_u32_u24 v55, v57, 60, v56
	s_delay_alu instid0(VALU_DEP_2) | instskip(NEXT) | instid1(VALU_DEP_2)
	v_mul_u32_u24_e32 v40, 0x60, v40
	v_mul_u32_u24_e32 v55, 0x60, v55
	s_delay_alu instid0(VALU_DEP_2) | instskip(SKIP_3) | instid1(VALU_DEP_2)
	v_add3_u32 v40, 0, v40, v48
	s_wait_loadcnt_dscnt 0x300
	v_mul_f32_e32 v56, v5, v23
	v_mul_f32_e32 v5, v5, v22
	v_fma_f32 v22, v4, v22, -v56
	v_add_nc_u32_e32 v3, 0x2580, v45
	v_add_nc_u32_e32 v35, 0x4380, v45
	ds_load_2addr_b64 v[24:27], v2 offset1:240
	ds_load_2addr_b64 v[28:31], v3 offset1:240
	;; [unrolled: 1-line block ×3, first 2 shown]
	v_add3_u32 v2, 0, v39, v48
	v_add3_u32 v3, 0, v47, v48
	v_dual_fmac_f32 v5, v4, v23 :: v_dual_and_b32 v32, 0xffff, v32
	s_wait_dscnt 0x2
	v_mul_f32_e32 v57, v7, v27
	v_mul_f32_e32 v7, v7, v26
	s_wait_loadcnt_dscnt 0x200
	v_mul_f32_e32 v23, v11, v35
	v_mul_f32_e32 v11, v11, v34
	v_mad_u32_u24 v32, v32, 60, v52
	v_fma_f32 v4, v6, v26, -v57
	v_fmac_f32_e32 v7, v6, v27
	v_and_b32_e32 v47, 0xffff, v38
	ds_load_b64 v[38:39], v2
	ds_load_b64 v[49:50], v3
	s_wait_loadcnt 0x1
	v_mul_f32_e32 v26, v31, v13
	v_mul_u32_u24_e32 v32, 0x60, v32
	v_mul_f32_e32 v6, v9, v29
	v_mad_u32_u24 v47, v47, 60, v53
	ds_load_b64 v[51:52], v46
	ds_load_b64 v[53:54], v45 offset:21120
	v_mul_f32_e32 v9, v9, v28
	v_add3_u32 v32, 0, v32, v48
	v_fma_f32 v28, v8, v28, -v6
	v_mul_u32_u24_e32 v47, 0x60, v47
	v_mul_f32_e32 v13, v30, v13
	v_mul_f32_e32 v27, v37, v15
	v_fma_f32 v23, v10, v34, -v23
	v_fmac_f32_e32 v11, v10, v35
	v_add3_u32 v47, 0, v47, v48
	v_add3_u32 v48, 0, v55, v48
	s_wait_loadcnt 0x0
	v_mul_f32_e32 v55, v25, v17
	v_dual_fmac_f32 v13, v31, v12 :: v_dual_add_f32 v6, v20, v22
	v_mul_f32_e32 v15, v36, v15
	global_wb scope:SCOPE_SE
	s_wait_dscnt 0x0
	v_fma_f32 v10, v24, v16, -v55
	v_mul_f32_e32 v17, v24, v17
	v_fmac_f32_e32 v9, v8, v29
	v_fma_f32 v8, v30, v12, -v26
	v_mul_f32_e32 v56, v54, v19
	v_mul_f32_e32 v19, v53, v19
	v_fmac_f32_e32 v17, v25, v16
	v_add_f32_e32 v16, v22, v4
	v_sub_f32_e32 v22, v22, v4
	v_fma_f32 v12, v36, v14, -v27
	v_dual_fmac_f32 v19, v54, v18 :: v_dual_add_f32 v24, v21, v5
	v_dual_add_f32 v4, v6, v4 :: v_dual_fmac_f32 v15, v37, v14
	v_sub_f32_e32 v26, v28, v23
	v_fma_f32 v14, v53, v18, -v56
	v_sub_f32_e32 v18, v5, v7
	v_fma_f32 v6, -0.5, v16, v20
	v_dual_add_f32 v25, v5, v7 :: v_dual_add_f32 v16, v51, v28
	v_add_f32_e32 v20, v28, v23
	v_add_f32_e32 v28, v8, v12
	;; [unrolled: 1-line block ×4, first 2 shown]
	v_sub_f32_e32 v34, v8, v12
	v_add_f32_e32 v36, v10, v14
	v_sub_f32_e32 v54, v10, v14
	v_fmamk_f32 v8, v18, 0x3f5db3d7, v6
	v_fma_f32 v7, -0.5, v25, v21
	v_fma_f32 v38, -0.5, v28, v38
	v_dual_add_f32 v35, v49, v10 :: v_dual_add_f32 v10, v16, v23
	v_dual_add_f32 v25, v9, v11 :: v_dual_add_f32 v12, v27, v12
	v_dual_sub_f32 v21, v9, v11 :: v_dual_add_f32 v24, v52, v9
	v_add_f32_e32 v30, v39, v13
	s_delay_alu instid0(VALU_DEP_3)
	v_dual_fmac_f32 v52, -0.5, v25 :: v_dual_sub_f32 v37, v17, v19
	v_fma_f32 v51, -0.5, v20, v51
	v_add_f32_e32 v53, v50, v17
	v_add_f32_e32 v17, v17, v19
	;; [unrolled: 1-line block ×3, first 2 shown]
	v_dual_sub_f32 v29, v13, v15 :: v_dual_add_f32 v14, v35, v14
	s_delay_alu instid0(VALU_DEP_3) | instskip(NEXT) | instid1(VALU_DEP_3)
	v_dual_fmamk_f32 v9, v22, 0xbf5db3d7, v7 :: v_dual_fmac_f32 v50, -0.5, v17
	v_fmac_f32_e32 v39, -0.5, v31
	v_fma_f32 v49, -0.5, v36, v49
	v_fmac_f32_e32 v6, 0xbf5db3d7, v18
	v_dual_fmac_f32 v7, 0x3f5db3d7, v22 :: v_dual_fmamk_f32 v18, v29, 0x3f5db3d7, v38
	v_fmamk_f32 v16, v21, 0x3f5db3d7, v51
	v_fmamk_f32 v17, v26, 0xbf5db3d7, v52
	v_dual_fmac_f32 v52, 0x3f5db3d7, v26 :: v_dual_add_f32 v11, v24, v11
	v_fmamk_f32 v20, v37, 0x3f5db3d7, v49
	v_fmac_f32_e32 v51, 0xbf5db3d7, v21
	v_add_f32_e32 v13, v30, v15
	v_add_f32_e32 v15, v53, v19
	v_fmamk_f32 v19, v34, 0xbf5db3d7, v39
	s_barrier_signal -1
	s_barrier_wait -1
	global_inv scope:SCOPE_SE
	v_fmac_f32_e32 v38, 0xbf5db3d7, v29
	v_fmac_f32_e32 v39, 0x3f5db3d7, v34
	;; [unrolled: 1-line block ×3, first 2 shown]
	v_fmamk_f32 v21, v54, 0xbf5db3d7, v50
	v_fmac_f32_e32 v50, 0x3f5db3d7, v54
	ds_store_2addr_b64 v32, v[4:5], v[8:9] offset1:240
	ds_store_b64 v32, v[6:7] offset:3840
	ds_store_2addr_b64 v40, v[10:11], v[16:17] offset1:240
	ds_store_b64 v40, v[51:52] offset:3840
	;; [unrolled: 2-line block ×4, first 2 shown]
	global_wb scope:SCOPE_SE
	s_wait_dscnt 0x0
	s_barrier_signal -1
	s_barrier_wait -1
	global_inv scope:SCOPE_SE
	s_wait_alu 0xfffe
	s_and_saveexec_b32 s13, s12
	s_cbranch_execz .LBB0_20
; %bb.19:
	v_subrev_nc_u32_e32 v4, 40, v44
	v_cmp_gt_u32_e32 vcc_lo, 0x1e0, v0
	v_subrev_nc_u32_e32 v6, 60, v44
	s_load_b64 s[0:1], s[0:1], 0x8
	v_mul_lo_u16 v1, 0x89, v1
	v_dual_mov_b32 v5, 0 :: v_dual_cndmask_b32 v16, v4, v43
	v_cmp_gt_u32_e32 vcc_lo, 0x2d0, v0
	s_delay_alu instid0(VALU_DEP_2) | instskip(SKIP_1) | instid1(VALU_DEP_2)
	v_add_nc_u32_e32 v17, 0xb4, v16
	v_mul_i32_i24_e32 v4, 3, v16
	v_mul_lo_u32 v17, v33, v17
	s_delay_alu instid0(VALU_DEP_2) | instskip(NEXT) | instid1(VALU_DEP_2)
	v_lshlrev_b64_e32 v[8:9], 3, v[4:5]
	v_and_b32_e32 v20, 0xff, v17
	v_lshrrev_b32_e32 v17, 5, v17
	s_wait_alu 0xfffd
	v_cndmask_b32_e32 v40, v6, v44, vcc_lo
	v_lshrrev_b16 v44, 13, v1
	s_delay_alu instid0(VALU_DEP_3) | instskip(NEXT) | instid1(VALU_DEP_3)
	v_and_b32_e32 v17, 0x7f8, v17
	v_mul_i32_i24_e32 v4, 3, v40
	s_delay_alu instid0(VALU_DEP_1) | instskip(NEXT) | instid1(VALU_DEP_1)
	v_lshlrev_b64_e32 v[4:5], 3, v[4:5]
	v_add_co_u32 v12, vcc_lo, s10, v4
	s_wait_alu 0xfffd
	s_delay_alu instid0(VALU_DEP_2)
	v_add_co_ci_u32_e32 v13, vcc_lo, s11, v5, vcc_lo
	v_add_co_u32 v14, vcc_lo, s10, v8
	s_wait_alu 0xfffd
	v_add_co_ci_u32_e32 v15, vcc_lo, s11, v9, vcc_lo
	global_load_b128 v[4:7], v[12:13], off offset:448
	v_cmp_lt_u32_e32 vcc_lo, 0x2cf, v0
	global_load_b128 v[8:11], v[14:15], off offset:448
	v_lshlrev_b32_e32 v20, 3, v20
	s_wait_kmcnt 0x0
	s_clause 0x1
	global_load_b64 v[24:25], v20, s[0:1]
	global_load_b64 v[26:27], v17, s[0:1] offset:2048
	v_add_nc_u32_e32 v18, 0x78, v16
	v_add_nc_u32_e32 v19, 60, v16
	v_mul_lo_u32 v16, v33, v16
	v_add_nc_u32_e32 v21, 0xb4, v40
	s_delay_alu instid0(VALU_DEP_4) | instskip(NEXT) | instid1(VALU_DEP_4)
	v_mul_lo_u32 v18, v33, v18
	v_mul_lo_u32 v19, v33, v19
	s_delay_alu instid0(VALU_DEP_4) | instskip(SKIP_1) | instid1(VALU_DEP_4)
	v_and_b32_e32 v22, 0xff, v16
	v_lshrrev_b32_e32 v16, 5, v16
	v_and_b32_e32 v23, 0xff, v18
	v_lshrrev_b32_e32 v18, 5, v18
	;; [unrolled: 2-line block ×3, first 2 shown]
	s_delay_alu instid0(VALU_DEP_4) | instskip(NEXT) | instid1(VALU_DEP_4)
	v_lshlrev_b32_e32 v20, 3, v23
	v_and_b32_e32 v18, 0x7f8, v18
	s_clause 0x1
	global_load_b64 v[28:29], v20, s[0:1]
	global_load_b64 v[30:31], v18, s[0:1] offset:2048
	v_mul_lo_u32 v18, v33, v21
	v_lshlrev_b32_e32 v17, 3, v17
	v_lshlrev_b32_e32 v20, 3, v22
	v_and_b32_e32 v19, 0x7f8, v19
	s_clause 0x1
	global_load_b64 v[34:35], v17, s[0:1]
	global_load_b64 v[36:37], v19, s[0:1] offset:2048
	v_lshrrev_b32_e32 v17, 5, v18
	v_mul_lo_u32 v19, v33, v40
	s_delay_alu instid0(VALU_DEP_2) | instskip(NEXT) | instid1(VALU_DEP_2)
	v_and_b32_e32 v17, 0x7f8, v17
	v_and_b32_e32 v1, 0xff, v19
	s_wait_loadcnt 0x4
	v_dual_mul_f32 v97, v24, v27 :: v_dual_and_b32 v16, 0x7f8, v16
	s_delay_alu instid0(VALU_DEP_1)
	v_fmac_f32_e32 v97, v25, v26
	s_clause 0x1
	global_load_b64 v[38:39], v20, s[0:1]
	global_load_b64 v[47:48], v16, s[0:1] offset:2048
	v_and_b32_e32 v16, 0xff, v18
	v_lshlrev_b32_e32 v1, 3, v1
	s_delay_alu instid0(VALU_DEP_2)
	v_lshlrev_b32_e32 v16, 3, v16
	s_clause 0x1
	global_load_b64 v[49:50], v16, s[0:1]
	global_load_b64 v[51:52], v17, s[0:1] offset:2048
	v_add_nc_u32_e32 v16, 0x78, v40
	v_add_nc_u32_e32 v17, 60, v40
	s_delay_alu instid0(VALU_DEP_2) | instskip(NEXT) | instid1(VALU_DEP_2)
	v_mul_lo_u32 v16, v33, v16
	v_mul_lo_u32 v17, v33, v17
	s_delay_alu instid0(VALU_DEP_2) | instskip(SKIP_1) | instid1(VALU_DEP_3)
	v_and_b32_e32 v18, 0xff, v16
	v_lshrrev_b32_e32 v16, 5, v16
	v_and_b32_e32 v20, 0xff, v17
	v_lshrrev_b32_e32 v17, 5, v17
	s_delay_alu instid0(VALU_DEP_4) | instskip(NEXT) | instid1(VALU_DEP_4)
	v_lshlrev_b32_e32 v18, 3, v18
	v_and_b32_e32 v16, 0x7f8, v16
	s_clause 0x1
	global_load_b64 v[53:54], v18, s[0:1]
	global_load_b64 v[55:56], v16, s[0:1] offset:2048
	v_lshlrev_b32_e32 v16, 3, v20
	v_lshrrev_b32_e32 v18, 5, v19
	v_and_b32_e32 v17, 0x7f8, v17
	s_clause 0x1
	global_load_b64 v[57:58], v16, s[0:1]
	global_load_b64 v[59:60], v17, s[0:1] offset:2048
	v_and_b32_e32 v17, 0x7f8, v18
	s_clause 0x1
	global_load_b64 v[61:62], v1, s[0:1]
	global_load_b64 v[63:64], v17, s[0:1] offset:2048
	v_mul_lo_u16 v16, v44, 60
	global_load_b64 v[65:66], v[14:15], off offset:464
	v_sub_nc_u16 v16, v42, v16
	s_delay_alu instid0(VALU_DEP_1) | instskip(NEXT) | instid1(VALU_DEP_1)
	v_and_b32_e32 v1, 0xff, v16
	v_mul_u32_u24_e32 v14, 3, v1
	v_add_nc_u32_e32 v17, 0x78, v1
	v_mul_lo_u32 v18, v33, v1
	s_delay_alu instid0(VALU_DEP_3)
	v_lshlrev_b32_e32 v16, 3, v14
	s_clause 0x2
	global_load_b64 v[67:68], v[12:13], off offset:464
	global_load_b128 v[12:15], v16, s[10:11] offset:448
	global_load_b64 v[69:70], v16, s[10:11] offset:464
	v_add_nc_u32_e32 v16, 0xb4, v1
	v_add_nc_u32_e32 v1, 60, v1
	v_mul_lo_u32 v17, v33, v17
	v_and_b32_e32 v19, 0xff, v18
	v_lshrrev_b32_e32 v18, 5, v18
	v_mul_lo_u32 v16, v33, v16
	v_mul_lo_u32 v1, v33, v1
	s_delay_alu instid0(VALU_DEP_4) | instskip(NEXT) | instid1(VALU_DEP_4)
	v_lshlrev_b32_e32 v19, 3, v19
	v_and_b32_e32 v18, 0x7f8, v18
	v_and_b32_e32 v21, 0xff, v17
	v_lshrrev_b32_e32 v17, 5, v17
	v_and_b32_e32 v20, 0xff, v16
	v_lshrrev_b32_e32 v16, 5, v16
	;; [unrolled: 2-line block ×3, first 2 shown]
	v_lshlrev_b32_e32 v21, 3, v21
	v_lshlrev_b32_e32 v20, 3, v20
	v_and_b32_e32 v16, 0x7f8, v16
	v_and_b32_e32 v17, 0x7f8, v17
	v_lshlrev_b32_e32 v22, 3, v22
	v_and_b32_e32 v1, 0x7f8, v1
	s_clause 0x7
	global_load_b64 v[32:33], v20, s[0:1]
	global_load_b64 v[71:72], v16, s[0:1] offset:2048
	global_load_b64 v[73:74], v21, s[0:1]
	global_load_b64 v[75:76], v17, s[0:1] offset:2048
	;; [unrolled: 2-line block ×4, first 2 shown]
	v_add_nc_u32_e32 v1, 0x2d00, v45
	ds_load_b64 v[85:86], v3
	ds_load_2addr_b64 v[16:19], v1 offset1:240
	v_add_nc_u32_e32 v1, 0x1e00, v45
	ds_load_2addr_b64 v[20:23], v1 offset1:240
	ds_load_b64 v[87:88], v2
	ds_load_b32 v89, v2
	s_wait_alu 0xfffd
	v_cndmask_b32_e64 v3, 0, 0xf0, vcc_lo
	v_cmp_lt_u32_e32 vcc_lo, 0x1df, v0
	s_lshl_b64 s[0:1], s[8:9], 3
	s_delay_alu instid0(SALU_CYCLE_1)
	s_add_nc_u64 s[0:1], s[2:3], s[0:1]
	s_wait_dscnt 0x3
	v_dual_mul_f32 v1, v5, v86 :: v_dual_mul_f32 v2, v7, v17
	v_mul_f32_e32 v90, v5, v85
	v_mul_f32_e32 v92, v7, v16
	;; [unrolled: 1-line block ×3, first 2 shown]
	s_delay_alu instid0(VALU_DEP_4)
	v_fma_f32 v85, v4, v85, -v1
	v_fma_f32 v94, v6, v16, -v2
	s_wait_dscnt 0x2
	v_dual_mul_f32 v1, v11, v19 :: v_dual_mul_f32 v2, v9, v21
	v_fmac_f32_e32 v90, v4, v86
	v_add_nc_u32_e32 v86, 0x4b00, v45
	v_fmac_f32_e32 v92, v6, v17
	ds_load_b32 v11, v46
	v_mul_f32_e32 v95, v9, v20
	v_fmac_f32_e32 v93, v10, v19
	v_fma_f32 v96, v10, v18, -v1
	v_add_nc_u32_e32 v91, 0x3c00, v45
	ds_load_b64 v[9:10], v45
	ds_load_b64 v[16:17], v46
	ds_load_b32 v45, v45
	v_fma_f32 v46, v8, v20, -v2
	v_mad_co_u64_u32 v[1:2], null, s6, v41, 0
	v_mul_f32_e32 v4, v25, v27
	s_wait_loadcnt 0x18
	v_mul_f32_e32 v5, v29, v31
	v_mul_f32_e32 v31, v28, v31
	v_fmac_f32_e32 v95, v8, v21
	s_wait_alu 0xfffd
	v_cndmask_b32_e64 v6, 0, 0xb4, vcc_lo
	v_fma_f32 v98, v24, v26, -v4
	v_mov_b32_e32 v0, v2
	v_add_nc_u32_e32 v4, v40, v3
	v_fma_f32 v40, v28, v30, -v5
	v_fmac_f32_e32 v31, v29, v30
	s_delay_alu instid0(VALU_DEP_4)
	v_mad_co_u64_u32 v[2:3], null, s7, v41, v[0:1]
	s_wait_loadcnt 0x16
	v_mul_f32_e32 v0, v35, v37
	v_mul_f32_e32 v37, v34, v37
	v_mad_co_u64_u32 v[18:19], null, s4, v4, 0
	v_add_nc_u32_e32 v5, 60, v4
	s_delay_alu instid0(VALU_DEP_4) | instskip(NEXT) | instid1(VALU_DEP_4)
	v_fma_f32 v34, v34, v36, -v0
	v_fmac_f32_e32 v37, v35, v36
	v_add_nc_u32_e32 v29, 0xb4, v4
	s_wait_dscnt 0x1
	v_sub_f32_e32 v16, v16, v96
	v_mad_co_u64_u32 v[20:21], null, s4, v5, 0
	v_mov_b32_e32 v0, v19
	v_mad_co_u64_u32 v[26:27], null, s4, v29, 0
	s_delay_alu instid0(VALU_DEP_4) | instskip(SKIP_3) | instid1(VALU_DEP_2)
	v_fma_f32 v11, v11, 2.0, -v16
	s_wait_loadcnt 0x14
	v_mul_f32_e32 v3, v39, v48
	v_mul_f32_e32 v30, v38, v48
	v_fma_f32 v35, v38, v47, -v3
	s_delay_alu instid0(VALU_DEP_2) | instskip(SKIP_4) | instid1(VALU_DEP_2)
	v_fmac_f32_e32 v30, v39, v47
	v_add_nc_u32_e32 v39, v43, v6
	s_wait_loadcnt 0x12
	v_mul_f32_e32 v7, v50, v52
	v_mul_f32_e32 v36, v49, v52
	v_fma_f32 v38, v49, v51, -v7
	s_delay_alu instid0(VALU_DEP_2) | instskip(SKIP_2) | instid1(VALU_DEP_1)
	v_dual_fmac_f32 v36, v50, v51 :: v_dual_mov_b32 v7, v27
	s_wait_loadcnt 0x10
	v_mul_f32_e32 v47, v53, v56
	v_fmac_f32_e32 v47, v54, v55
	s_wait_loadcnt 0xe
	v_mul_f32_e32 v49, v57, v60
	s_wait_loadcnt 0xc
	v_mul_f32_e32 v51, v61, v64
	v_add_nc_u32_e32 v8, 0x78, v4
	v_mad_co_u64_u32 v[3:4], null, s5, v4, v[0:1]
	s_delay_alu instid0(VALU_DEP_3) | instskip(NEXT) | instid1(VALU_DEP_3)
	v_dual_mov_b32 v0, v21 :: v_dual_fmac_f32 v51, v62, v63
	v_mad_co_u64_u32 v[24:25], null, s4, v8, 0
	v_fmac_f32_e32 v49, v58, v59
	s_delay_alu instid0(VALU_DEP_3) | instskip(SKIP_1) | instid1(VALU_DEP_4)
	v_mad_co_u64_u32 v[4:5], null, s5, v5, v[0:1]
	v_lshlrev_b64_e32 v[5:6], 3, v[1:2]
	v_dual_mov_b32 v19, v3 :: v_dual_mov_b32 v0, v25
	s_delay_alu instid0(VALU_DEP_2) | instskip(NEXT) | instid1(VALU_DEP_2)
	v_add_co_u32 v41, vcc_lo, s0, v5
	v_mad_co_u64_u32 v[27:28], null, s5, v8, v[0:1]
	v_mad_co_u64_u32 v[7:8], null, s5, v29, v[7:8]
	ds_load_2addr_b64 v[0:3], v86 offset1:240
	v_mov_b32_e32 v21, v4
	s_wait_alu 0xfffd
	v_add_co_ci_u32_e32 v43, vcc_lo, s1, v6, vcc_lo
	v_dual_mov_b32 v25, v27 :: v_dual_mul_f32 v8, v54, v56
	v_mov_b32_e32 v27, v7
	ds_load_2addr_b64 v[4:7], v91 offset1:240
	v_lshlrev_b64_e32 v[18:19], 3, v[18:19]
	v_lshlrev_b64_e32 v[20:21], 3, v[20:21]
	v_fma_f32 v48, v53, v55, -v8
	v_mul_f32_e32 v8, v58, v60
	s_delay_alu instid0(VALU_DEP_4) | instskip(NEXT) | instid1(VALU_DEP_2)
	v_add_co_u32 v18, vcc_lo, v41, v18
	v_fma_f32 v50, v57, v59, -v8
	v_mul_f32_e32 v8, v62, v64
	s_wait_alu 0xfffd
	v_add_co_ci_u32_e32 v19, vcc_lo, v43, v19, vcc_lo
	s_wait_loadcnt_dscnt 0xb01
	v_mul_f32_e32 v53, v1, v66
	v_add_co_u32 v20, vcc_lo, v41, v20
	v_fma_f32 v54, v61, v63, -v8
	v_mul_f32_e32 v8, v0, v66
	s_delay_alu instid0(VALU_DEP_4)
	v_fma_f32 v53, v0, v65, -v53
	s_wait_alu 0xfffd
	v_add_co_ci_u32_e32 v21, vcc_lo, v43, v21, vcc_lo
	s_wait_loadcnt_dscnt 0xa00
	v_mul_f32_e32 v0, v68, v7
	v_dual_fmac_f32 v8, v1, v65 :: v_dual_mul_f32 v55, v68, v6
	s_wait_loadcnt 0x9
	v_mul_f32_e32 v56, v4, v15
	v_mul_f32_e32 v15, v5, v15
	v_fma_f32 v57, v67, v6, -v0
	v_sub_f32_e32 v8, v95, v8
	v_fmac_f32_e32 v55, v67, v7
	v_lshlrev_b64_e32 v[6:7], 3, v[24:25]
	v_mul_f32_e32 v24, v23, v13
	v_dual_mul_f32 v13, v22, v13 :: v_dual_fmac_f32 v56, v5, v14
	s_wait_loadcnt 0x8
	v_mul_f32_e32 v5, v3, v70
	v_fma_f32 v4, v4, v14, -v15
	v_fma_f32 v22, v22, v12, -v24
	v_sub_f32_e32 v24, v10, v92
	v_fmac_f32_e32 v13, v23, v12
	v_sub_f32_e32 v12, v16, v8
	v_add_nc_u32_e32 v52, 60, v39
	v_mul_f32_e32 v14, v2, v70
	v_dual_sub_f32 v25, v46, v53 :: v_dual_sub_f32 v4, v87, v4
	v_fma_f32 v2, v2, v69, -v5
	v_sub_f32_e32 v15, v17, v93
	s_delay_alu instid0(VALU_DEP_4) | instskip(SKIP_2) | instid1(VALU_DEP_4)
	v_fmac_f32_e32 v14, v3, v69
	v_fma_f32 v8, v95, 2.0, -v8
	v_fma_f32 v23, v46, 2.0, -v25
	v_dual_sub_f32 v2, v22, v2 :: v_dual_add_f32 v5, v15, v25
	v_fma_f32 v17, v17, 2.0, -v15
	s_wait_loadcnt 0x6
	v_dual_sub_f32 v25, v85, v57 :: v_dual_mul_f32 v60, v32, v72
	v_dual_sub_f32 v46, v9, v94 :: v_dual_sub_f32 v9, v90, v55
	s_delay_alu instid0(VALU_DEP_3)
	v_dual_sub_f32 v8, v17, v8 :: v_dual_mul_f32 v3, v12, v97
	s_wait_loadcnt 0x4
	v_dual_mul_f32 v62, v73, v76 :: v_dual_sub_f32 v23, v11, v23
	s_wait_loadcnt 0x2
	v_mul_f32_e32 v64, v77, v80
	v_fma_f32 v16, v16, 2.0, -v12
	s_wait_loadcnt 0x0
	v_dual_sub_f32 v57, v46, v9 :: v_dual_mul_f32 v66, v81, v84
	v_fma_f32 v58, v10, 2.0, -v24
	v_fma_f32 v10, v90, 2.0, -v9
	v_sub_f32_e32 v53, v88, v56
	v_add_f32_e32 v56, v24, v25
	v_sub_f32_e32 v14, v13, v14
	v_mul_f32_e32 v55, v5, v97
	v_fma_f32 v15, v15, 2.0, -v5
	v_fma_f32 v45, v45, 2.0, -v46
	;; [unrolled: 1-line block ×3, first 2 shown]
	v_dual_sub_f32 v68, v4, v14 :: v_dual_mul_f32 v59, v33, v72
	v_mul_f32_e32 v61, v74, v76
	v_dual_mul_f32 v63, v78, v80 :: v_dual_fmac_f32 v60, v33, v71
	v_dual_add_f32 v67, v53, v2 :: v_dual_fmac_f32 v62, v74, v75
	v_fma_f32 v13, v13, 2.0, -v14
	v_fma_f32 v14, v89, 2.0, -v4
	;; [unrolled: 1-line block ×3, first 2 shown]
	v_dual_fmac_f32 v3, v5, v98 :: v_dual_fmac_f32 v64, v78, v79
	v_fma_f32 v2, v12, v98, -v55
	v_mul_f32_e32 v12, v8, v31
	v_dual_mul_f32 v9, v16, v37 :: v_dual_fmac_f32 v66, v82, v83
	v_fma_f32 v55, v11, 2.0, -v23
	v_mul_f32_e32 v11, v57, v36
	v_sub_f32_e32 v70, v45, v25
	v_fma_f32 v24, v24, 2.0, -v56
	v_mul_f32_e32 v5, v23, v31
	v_mul_f32_e32 v31, v15, v37
	v_fma_f32 v37, v17, 2.0, -v8
	v_mul_f32_e32 v65, v82, v84
	v_dual_mul_f32 v17, v56, v36 :: v_dual_sub_f32 v36, v58, v10
	v_fma_f32 v69, v88, 2.0, -v53
	v_mad_co_u64_u32 v[28:29], null, s4, v39, 0
	v_fma_f32 v32, v32, v71, -v59
	v_fma_f32 v59, v73, v75, -v61
	;; [unrolled: 1-line block ×3, first 2 shown]
	v_sub_f32_e32 v71, v14, v22
	v_fma_f32 v72, v4, 2.0, -v68
	v_fma_f32 v4, v23, v40, -v12
	v_fmac_f32_e32 v9, v15, v34
	v_mul_f32_e32 v12, v37, v30
	v_fma_f32 v63, v81, v83, -v65
	v_sub_f32_e32 v65, v69, v13
	v_mul_f32_e32 v13, v55, v30
	v_dual_mul_f32 v15, v70, v47 :: v_dual_mul_f32 v22, v24, v49
	v_fmac_f32_e32 v5, v8, v40
	v_fma_f32 v8, v16, v34, -v31
	v_fma_f32 v30, v58, 2.0, -v36
	v_fma_f32 v34, v45, 2.0, -v70
	;; [unrolled: 1-line block ×3, first 2 shown]
	v_mul_f32_e32 v16, v36, v47
	v_dual_mul_f32 v23, v68, v60 :: v_dual_mul_f32 v40, v65, v62
	v_fma_f32 v10, v57, v38, -v17
	v_fmac_f32_e32 v15, v36, v48
	v_mul_f32_e32 v33, v34, v51
	v_dual_mul_f32 v36, v30, v51 :: v_dual_fmac_f32 v11, v56, v38
	v_dual_mul_f32 v38, v67, v60 :: v_dual_mul_f32 v17, v46, v49
	v_fma_f32 v49, v14, 2.0, -v71
	v_fma_f32 v14, v70, v48, -v16
	v_fma_f32 v16, v46, v50, -v22
	v_fmac_f32_e32 v23, v67, v32
	v_fma_f32 v22, v68, v32, -v38
	v_fmac_f32_e32 v33, v30, v54
	;; [unrolled: 2-line block ×3, first 2 shown]
	s_clause 0x1
	global_store_b64 v[18:19], v[32:33], off
	global_store_b64 v[20:21], v[16:17], off
	v_lshlrev_b64_e32 v[17:18], 3, v[26:27]
	v_mov_b32_e32 v16, v29
	v_add_nc_u32_e32 v32, 0x78, v39
	v_mad_co_u64_u32 v[0:1], null, s4, v52, 0
	v_add_co_u32 v6, vcc_lo, v41, v6
	s_delay_alu instid0(VALU_DEP_4) | instskip(NEXT) | instid1(VALU_DEP_4)
	v_mad_co_u64_u32 v[19:20], null, s5, v39, v[16:17]
	v_mad_co_u64_u32 v[26:27], null, s4, v32, 0
	s_wait_alu 0xfffd
	v_add_co_ci_u32_e32 v7, vcc_lo, v43, v7, vcc_lo
	v_add_co_u32 v16, vcc_lo, v41, v17
	v_mad_co_u64_u32 v[20:21], null, s5, v52, v[1:2]
	s_wait_alu 0xfffd
	v_add_co_ci_u32_e32 v17, vcc_lo, v43, v18, vcc_lo
	v_mov_b32_e32 v29, v19
	global_store_b64 v[6:7], v[14:15], off
	v_mov_b32_e32 v6, v27
	global_store_b64 v[16:17], v[10:11], off
	v_mov_b32_e32 v1, v20
	v_lshlrev_b64_e32 v[10:11], 3, v[28:29]
	v_fmac_f32_e32 v13, v37, v35
	v_mad_co_u64_u32 v[6:7], null, s5, v32, v[6:7]
	v_fma_f32 v12, v55, v35, -v12
	v_lshlrev_b64_e32 v[0:1], 3, v[0:1]
	v_add_co_u32 v10, vcc_lo, v41, v10
	v_add_nc_u32_e32 v14, 0xb4, v39
	s_wait_alu 0xfffd
	v_add_co_ci_u32_e32 v11, vcc_lo, v43, v11, vcc_lo
	v_mov_b32_e32 v27, v6
	v_add_co_u32 v0, vcc_lo, v41, v0
	v_mad_co_u64_u32 v[6:7], null, s4, v14, 0
	global_store_b64 v[10:11], v[12:13], off
	v_and_b32_e32 v12, 0xffff, v44
	v_lshlrev_b64_e32 v[10:11], 3, v[26:27]
	s_wait_alu 0xfffd
	v_add_co_ci_u32_e32 v1, vcc_lo, v43, v1, vcc_lo
	v_fma_f32 v53, v53, 2.0, -v67
	v_mad_u32_u24 v15, 0xb4, v12, v42
	v_fma_f32 v47, v69, 2.0, -v65
	global_store_b64 v[0:1], v[8:9], off
	v_mov_b32_e32 v0, v7
	v_add_co_u32 v7, vcc_lo, v41, v10
	v_add_nc_u32_e32 v16, 60, v15
	s_wait_alu 0xfffd
	v_add_co_ci_u32_e32 v8, vcc_lo, v43, v11, vcc_lo
	v_mad_co_u64_u32 v[0:1], null, s5, v14, v[0:1]
	v_mad_co_u64_u32 v[9:10], null, s4, v15, 0
	global_store_b64 v[7:8], v[4:5], off
	v_mad_co_u64_u32 v[4:5], null, s4, v16, 0
	v_dual_mul_f32 v25, v71, v62 :: v_dual_add_nc_u32 v8, 0x78, v15
	v_dual_mov_b32 v7, v0 :: v_dual_mov_b32 v0, v10
	v_add_nc_u32_e32 v17, 0xb4, v15
	v_mul_f32_e32 v35, v49, v66
	v_mov_b32_e32 v1, v5
	v_mad_co_u64_u32 v[11:12], null, s4, v8, 0
	v_lshlrev_b64_e32 v[6:7], 3, v[6:7]
	v_mul_f32_e32 v37, v47, v66
	s_delay_alu instid0(VALU_DEP_4) | instskip(SKIP_3) | instid1(VALU_DEP_4)
	v_mad_co_u64_u32 v[13:14], null, s5, v15, v[0:1]
	v_mad_co_u64_u32 v[0:1], null, s5, v16, v[1:2]
	v_mad_co_u64_u32 v[14:15], null, s4, v17, 0
	v_add_co_u32 v6, vcc_lo, v41, v6
	v_dual_mul_f32 v31, v72, v64 :: v_dual_mov_b32 v10, v13
	v_mov_b32_e32 v1, v12
	s_wait_alu 0xfffd
	v_add_co_ci_u32_e32 v7, vcc_lo, v43, v7, vcc_lo
	v_mov_b32_e32 v5, v0
	v_fmac_f32_e32 v35, v47, v63
	v_mad_co_u64_u32 v[0:1], null, s5, v8, v[1:2]
	global_store_b64 v[6:7], v[2:3], off
	v_lshlrev_b64_e32 v[2:3], 3, v[9:10]
	v_mov_b32_e32 v1, v15
	v_mul_f32_e32 v45, v53, v64
	v_lshlrev_b64_e32 v[4:5], 3, v[4:5]
	v_fma_f32 v34, v49, v63, -v37
	v_mov_b32_e32 v12, v0
	v_mad_co_u64_u32 v[6:7], null, s5, v17, v[1:2]
	v_add_co_u32 v0, vcc_lo, v41, v2
	s_wait_alu 0xfffd
	v_add_co_ci_u32_e32 v1, vcc_lo, v43, v3, vcc_lo
	v_lshlrev_b64_e32 v[2:3], 3, v[11:12]
	v_add_co_u32 v4, vcc_lo, v41, v4
	v_mov_b32_e32 v15, v6
	s_wait_alu 0xfffd
	v_add_co_ci_u32_e32 v5, vcc_lo, v43, v5, vcc_lo
	s_delay_alu instid0(VALU_DEP_4) | instskip(NEXT) | instid1(VALU_DEP_3)
	v_add_co_u32 v2, vcc_lo, v41, v2
	v_lshlrev_b64_e32 v[6:7], 3, v[14:15]
	s_wait_alu 0xfffd
	v_add_co_ci_u32_e32 v3, vcc_lo, v43, v3, vcc_lo
	v_fmac_f32_e32 v31, v53, v61
	v_fma_f32 v30, v72, v61, -v45
	v_fmac_f32_e32 v25, v65, v59
	v_add_co_u32 v6, vcc_lo, v41, v6
	v_fma_f32 v24, v71, v59, -v40
	s_wait_alu 0xfffd
	v_add_co_ci_u32_e32 v7, vcc_lo, v43, v7, vcc_lo
	s_clause 0x3
	global_store_b64 v[0:1], v[34:35], off
	global_store_b64 v[4:5], v[30:31], off
	;; [unrolled: 1-line block ×4, first 2 shown]
.LBB0_20:
	s_nop 0
	s_sendmsg sendmsg(MSG_DEALLOC_VGPRS)
	s_endpgm
	.section	.rodata,"a",@progbits
	.p2align	6, 0x0
	.amdhsa_kernel fft_rtc_fwd_len240_factors_4_5_3_4_wgs_240_tpt_20_dim3_sp_ip_CI_sbcc_twdbase8_2step_dirReg
		.amdhsa_group_segment_fixed_size 0
		.amdhsa_private_segment_fixed_size 0
		.amdhsa_kernarg_size 88
		.amdhsa_user_sgpr_count 2
		.amdhsa_user_sgpr_dispatch_ptr 0
		.amdhsa_user_sgpr_queue_ptr 0
		.amdhsa_user_sgpr_kernarg_segment_ptr 1
		.amdhsa_user_sgpr_dispatch_id 0
		.amdhsa_user_sgpr_private_segment_size 0
		.amdhsa_wavefront_size32 1
		.amdhsa_uses_dynamic_stack 0
		.amdhsa_enable_private_segment 0
		.amdhsa_system_sgpr_workgroup_id_x 1
		.amdhsa_system_sgpr_workgroup_id_y 0
		.amdhsa_system_sgpr_workgroup_id_z 0
		.amdhsa_system_sgpr_workgroup_info 0
		.amdhsa_system_vgpr_workitem_id 0
		.amdhsa_next_free_vgpr 99
		.amdhsa_next_free_sgpr 25
		.amdhsa_reserve_vcc 1
		.amdhsa_float_round_mode_32 0
		.amdhsa_float_round_mode_16_64 0
		.amdhsa_float_denorm_mode_32 3
		.amdhsa_float_denorm_mode_16_64 3
		.amdhsa_fp16_overflow 0
		.amdhsa_workgroup_processor_mode 1
		.amdhsa_memory_ordered 1
		.amdhsa_forward_progress 0
		.amdhsa_round_robin_scheduling 0
		.amdhsa_exception_fp_ieee_invalid_op 0
		.amdhsa_exception_fp_denorm_src 0
		.amdhsa_exception_fp_ieee_div_zero 0
		.amdhsa_exception_fp_ieee_overflow 0
		.amdhsa_exception_fp_ieee_underflow 0
		.amdhsa_exception_fp_ieee_inexact 0
		.amdhsa_exception_int_div_zero 0
	.end_amdhsa_kernel
	.text
.Lfunc_end0:
	.size	fft_rtc_fwd_len240_factors_4_5_3_4_wgs_240_tpt_20_dim3_sp_ip_CI_sbcc_twdbase8_2step_dirReg, .Lfunc_end0-fft_rtc_fwd_len240_factors_4_5_3_4_wgs_240_tpt_20_dim3_sp_ip_CI_sbcc_twdbase8_2step_dirReg
                                        ; -- End function
	.section	.AMDGPU.csdata,"",@progbits
; Kernel info:
; codeLenInByte = 9336
; NumSgprs: 27
; NumVgprs: 99
; ScratchSize: 0
; MemoryBound: 0
; FloatMode: 240
; IeeeMode: 1
; LDSByteSize: 0 bytes/workgroup (compile time only)
; SGPRBlocks: 3
; VGPRBlocks: 12
; NumSGPRsForWavesPerEU: 27
; NumVGPRsForWavesPerEU: 99
; Occupancy: 12
; WaveLimiterHint : 1
; COMPUTE_PGM_RSRC2:SCRATCH_EN: 0
; COMPUTE_PGM_RSRC2:USER_SGPR: 2
; COMPUTE_PGM_RSRC2:TRAP_HANDLER: 0
; COMPUTE_PGM_RSRC2:TGID_X_EN: 1
; COMPUTE_PGM_RSRC2:TGID_Y_EN: 0
; COMPUTE_PGM_RSRC2:TGID_Z_EN: 0
; COMPUTE_PGM_RSRC2:TIDIG_COMP_CNT: 0
	.text
	.p2alignl 7, 3214868480
	.fill 96, 4, 3214868480
	.type	__hip_cuid_3c933937e166652e,@object ; @__hip_cuid_3c933937e166652e
	.section	.bss,"aw",@nobits
	.globl	__hip_cuid_3c933937e166652e
__hip_cuid_3c933937e166652e:
	.byte	0                               ; 0x0
	.size	__hip_cuid_3c933937e166652e, 1

	.ident	"AMD clang version 19.0.0git (https://github.com/RadeonOpenCompute/llvm-project roc-6.4.0 25133 c7fe45cf4b819c5991fe208aaa96edf142730f1d)"
	.section	".note.GNU-stack","",@progbits
	.addrsig
	.addrsig_sym __hip_cuid_3c933937e166652e
	.amdgpu_metadata
---
amdhsa.kernels:
  - .args:
      - .actual_access:  read_only
        .address_space:  global
        .offset:         0
        .size:           8
        .value_kind:     global_buffer
      - .address_space:  global
        .offset:         8
        .size:           8
        .value_kind:     global_buffer
      - .actual_access:  read_only
        .address_space:  global
        .offset:         16
        .size:           8
        .value_kind:     global_buffer
      - .actual_access:  read_only
        .address_space:  global
        .offset:         24
        .size:           8
        .value_kind:     global_buffer
      - .offset:         32
        .size:           8
        .value_kind:     by_value
      - .actual_access:  read_only
        .address_space:  global
        .offset:         40
        .size:           8
        .value_kind:     global_buffer
      - .actual_access:  read_only
        .address_space:  global
        .offset:         48
        .size:           8
        .value_kind:     global_buffer
      - .offset:         56
        .size:           4
        .value_kind:     by_value
      - .actual_access:  read_only
        .address_space:  global
        .offset:         64
        .size:           8
        .value_kind:     global_buffer
      - .actual_access:  read_only
        .address_space:  global
        .offset:         72
        .size:           8
        .value_kind:     global_buffer
      - .address_space:  global
        .offset:         80
        .size:           8
        .value_kind:     global_buffer
    .group_segment_fixed_size: 0
    .kernarg_segment_align: 8
    .kernarg_segment_size: 88
    .language:       OpenCL C
    .language_version:
      - 2
      - 0
    .max_flat_workgroup_size: 240
    .name:           fft_rtc_fwd_len240_factors_4_5_3_4_wgs_240_tpt_20_dim3_sp_ip_CI_sbcc_twdbase8_2step_dirReg
    .private_segment_fixed_size: 0
    .sgpr_count:     27
    .sgpr_spill_count: 0
    .symbol:         fft_rtc_fwd_len240_factors_4_5_3_4_wgs_240_tpt_20_dim3_sp_ip_CI_sbcc_twdbase8_2step_dirReg.kd
    .uniform_work_group_size: 1
    .uses_dynamic_stack: false
    .vgpr_count:     99
    .vgpr_spill_count: 0
    .wavefront_size: 32
    .workgroup_processor_mode: 1
amdhsa.target:   amdgcn-amd-amdhsa--gfx1201
amdhsa.version:
  - 1
  - 2
...

	.end_amdgpu_metadata
